;; amdgpu-corpus repo=ROCm/rocFFT kind=compiled arch=gfx1201 opt=O3
	.text
	.amdgcn_target "amdgcn-amd-amdhsa--gfx1201"
	.amdhsa_code_object_version 6
	.protected	fft_rtc_back_len1331_factors_11_11_11_wgs_121_tpt_121_half_op_CI_CI_sbrc_unaligned_dirReg ; -- Begin function fft_rtc_back_len1331_factors_11_11_11_wgs_121_tpt_121_half_op_CI_CI_sbrc_unaligned_dirReg
	.globl	fft_rtc_back_len1331_factors_11_11_11_wgs_121_tpt_121_half_op_CI_CI_sbrc_unaligned_dirReg
	.p2align	8
	.type	fft_rtc_back_len1331_factors_11_11_11_wgs_121_tpt_121_half_op_CI_CI_sbrc_unaligned_dirReg,@function
fft_rtc_back_len1331_factors_11_11_11_wgs_121_tpt_121_half_op_CI_CI_sbrc_unaligned_dirReg: ; @fft_rtc_back_len1331_factors_11_11_11_wgs_121_tpt_121_half_op_CI_CI_sbrc_unaligned_dirReg
; %bb.0:
	s_clause 0x1
	s_load_b256 s[4:11], s[0:1], 0x0
	s_load_b64 s[26:27], s[0:1], 0x20
	s_mov_b32 s17, 0
	s_mov_b64 s[34:35], 2
	s_mov_b32 s29, s17
	s_wait_kmcnt 0x0
	s_load_b32 s33, s[8:9], 0x8
	s_load_b128 s[20:23], s[10:11], 0x0
	s_load_b128 s[12:15], s[26:27], 0x0
	s_wait_kmcnt 0x0
	s_cvt_f32_u32 s2, s33
	s_sub_co_i32 s3, 0, s33
	s_delay_alu instid0(SALU_CYCLE_2) | instskip(NEXT) | instid1(TRANS32_DEP_1)
	v_rcp_iflag_f32_e32 v1, s2
	v_readfirstlane_b32 s2, v1
	s_delay_alu instid0(VALU_DEP_1) | instskip(SKIP_1) | instid1(SALU_CYCLE_2)
	s_mul_f32 s2, s2, 0x4f7ffffe
	s_wait_alu 0xfffe
	s_cvt_u32_f32 s2, s2
	s_wait_alu 0xfffe
	s_delay_alu instid0(SALU_CYCLE_2)
	s_mul_i32 s3, s3, s2
	s_wait_alu 0xfffe
	s_mul_hi_u32 s3, s2, s3
	s_wait_alu 0xfffe
	s_add_co_i32 s2, s2, s3
	s_wait_alu 0xfffe
	s_mul_hi_u32 s2, ttmp9, s2
	s_wait_alu 0xfffe
	s_mul_i32 s3, s2, s33
	s_add_co_i32 s15, s2, 1
	s_wait_alu 0xfffe
	s_sub_co_i32 s3, ttmp9, s3
	s_wait_alu 0xfffe
	s_sub_co_i32 s16, s3, s33
	s_cmp_ge_u32 s3, s33
	s_cselect_b32 s2, s15, s2
	s_cselect_b32 s3, s16, s3
	s_wait_alu 0xfffe
	s_add_co_i32 s15, s2, 1
	s_cmp_ge_u32 s3, s33
	v_cmp_gt_u64_e64 s3, s[6:7], 2
	s_cselect_b32 s24, s15, s2
	s_delay_alu instid0(SALU_CYCLE_1) | instskip(SKIP_2) | instid1(VALU_DEP_1)
	s_mul_i32 s2, s24, s33
	s_wait_alu 0xfffe
	s_sub_co_i32 s28, ttmp9, s2
	s_and_b32 vcc_lo, exec_lo, s3
	s_mul_i32 s16, s28, s22
	s_mul_u64 s[2:3], s[12:13], s[28:29]
	s_cbranch_vccz .LBB0_8
; %bb.1:
	s_mov_b32 s18, ttmp9
	s_mov_b32 s19, s17
	s_mov_b32 s30, 3
	s_mov_b64 s[12:13], s[16:17]
	s_mov_b32 s15, s33
	s_mov_b32 s16, s24
.LBB0_2:                                ; =>This Inner Loop Header: Depth=1
	s_lshl_b64 s[34:35], s[34:35], 3
	s_mov_b32 s36, s17
	s_add_nc_u64 s[24:25], s[8:9], s[34:35]
                                        ; implicit-def: $sgpr38_sgpr39
	s_load_b64 s[24:25], s[24:25], 0x0
	s_wait_kmcnt 0x0
	s_mov_b32 s37, s25
	s_delay_alu instid0(SALU_CYCLE_1)
	s_cmp_lg_u64 s[36:37], 0
	s_mov_b32 s37, -1
	s_cbranch_scc0 .LBB0_4
; %bb.3:                                ;   in Loop: Header=BB0_2 Depth=1
	s_cvt_f32_u32 s23, s24
	s_cvt_f32_u32 s29, s25
	s_sub_nc_u64 s[40:41], 0, s[24:25]
	s_mov_b32 s37, 0
	s_mov_b32 s45, s17
	s_wait_alu 0xfffe
	s_fmamk_f32 s23, s29, 0x4f800000, s23
	s_wait_alu 0xfffe
	s_delay_alu instid0(SALU_CYCLE_2) | instskip(NEXT) | instid1(TRANS32_DEP_1)
	v_s_rcp_f32 s23, s23
	s_mul_f32 s23, s23, 0x5f7ffffc
	s_wait_alu 0xfffe
	s_delay_alu instid0(SALU_CYCLE_2) | instskip(NEXT) | instid1(SALU_CYCLE_3)
	s_mul_f32 s29, s23, 0x2f800000
	s_trunc_f32 s29, s29
	s_delay_alu instid0(SALU_CYCLE_3) | instskip(SKIP_2) | instid1(SALU_CYCLE_1)
	s_fmamk_f32 s23, s29, 0xcf800000, s23
	s_cvt_u32_f32 s39, s29
	s_wait_alu 0xfffe
	s_cvt_u32_f32 s38, s23
	s_wait_alu 0xfffe
	s_delay_alu instid0(SALU_CYCLE_2)
	s_mul_u64 s[42:43], s[40:41], s[38:39]
	s_wait_alu 0xfffe
	s_mul_hi_u32 s47, s38, s43
	s_mul_i32 s46, s38, s43
	s_mul_hi_u32 s36, s38, s42
	s_mul_i32 s29, s39, s42
	s_add_nc_u64 s[46:47], s[36:37], s[46:47]
	s_mul_hi_u32 s23, s39, s42
	s_mul_hi_u32 s31, s39, s43
	s_add_co_u32 s29, s46, s29
	s_wait_alu 0xfffe
	s_add_co_ci_u32 s44, s47, s23
	s_mul_i32 s42, s39, s43
	s_add_co_ci_u32 s43, s31, 0
	s_wait_alu 0xfffe
	s_add_nc_u64 s[42:43], s[44:45], s[42:43]
	s_wait_alu 0xfffe
	v_add_co_u32 v1, s23, s38, s42
	s_delay_alu instid0(VALU_DEP_1) | instskip(SKIP_1) | instid1(VALU_DEP_1)
	s_cmp_lg_u32 s23, 0
	s_add_co_ci_u32 s39, s39, s43
	v_readfirstlane_b32 s38, v1
	s_mov_b32 s43, s17
	s_wait_alu 0xfffe
	s_delay_alu instid0(VALU_DEP_1)
	s_mul_u64 s[40:41], s[40:41], s[38:39]
	s_wait_alu 0xfffe
	s_mul_hi_u32 s45, s38, s41
	s_mul_i32 s44, s38, s41
	s_mul_hi_u32 s36, s38, s40
	s_mul_i32 s29, s39, s40
	s_add_nc_u64 s[44:45], s[36:37], s[44:45]
	s_mul_hi_u32 s23, s39, s40
	s_mul_hi_u32 s31, s39, s41
	s_add_co_u32 s29, s44, s29
	s_wait_alu 0xfffe
	s_add_co_ci_u32 s42, s45, s23
	s_mul_i32 s40, s39, s41
	s_add_co_ci_u32 s41, s31, 0
	s_wait_alu 0xfffe
	s_add_nc_u64 s[40:41], s[42:43], s[40:41]
	s_mov_b32 s42, s17
	s_wait_alu 0xfffe
	v_add_co_u32 v1, s23, v1, s40
	s_delay_alu instid0(VALU_DEP_1) | instskip(SKIP_1) | instid1(VALU_DEP_1)
	s_cmp_lg_u32 s23, 0
	s_add_co_ci_u32 s29, s39, s41
	v_readfirstlane_b32 s23, v1
	s_mul_hi_u32 s41, s16, s29
	s_mul_i32 s40, s16, s29
	s_mov_b32 s39, s17
	s_delay_alu instid0(VALU_DEP_1)
	s_mul_hi_u32 s36, s16, s23
	s_wait_alu 0xfffe
	s_add_nc_u64 s[40:41], s[36:37], s[40:41]
	s_wait_alu 0xfffe
	s_mov_b32 s38, s41
	s_wait_alu 0xfffe
	s_or_b64 s[38:39], s[38:39], s[42:43]
	s_mov_b32 s38, s41
	s_wait_alu 0xfffe
	s_mul_u64 s[42:43], s[24:25], s[38:39]
	s_add_nc_u64 s[44:45], s[38:39], 1
	s_wait_alu 0xfffe
	v_sub_co_u32 v1, s23, s16, s42
	s_sub_co_i32 s29, 0, s43
	s_cmp_lg_u32 s23, 0
	s_add_nc_u64 s[46:47], s[38:39], 2
	s_delay_alu instid0(VALU_DEP_1) | instskip(SKIP_2) | instid1(VALU_DEP_1)
	v_sub_co_u32 v2, s31, v1, s24
	s_sub_co_ci_u32 s29, s29, s25
	s_cmp_lg_u32 s31, 0
	v_readfirstlane_b32 s31, v2
	s_sub_co_ci_u32 s29, s29, 0
	s_delay_alu instid0(SALU_CYCLE_1) | instskip(SKIP_1) | instid1(VALU_DEP_1)
	s_cmp_ge_u32 s29, s25
	s_cselect_b32 s36, -1, 0
	s_cmp_ge_u32 s31, s24
	s_cselect_b32 s31, -1, 0
	s_cmp_eq_u32 s29, s25
	s_wait_alu 0xfffe
	s_cselect_b32 s29, s31, s36
	s_delay_alu instid0(SALU_CYCLE_1)
	s_cmp_lg_u32 s29, 0
	s_cselect_b32 s29, s46, s44
	s_cselect_b32 s31, s47, s45
	s_cmp_lg_u32 s23, 0
	v_readfirstlane_b32 s23, v1
	s_sub_co_ci_u32 s36, 0, s43
	s_delay_alu instid0(SALU_CYCLE_1) | instskip(SKIP_1) | instid1(VALU_DEP_1)
	s_cmp_ge_u32 s36, s25
	s_cselect_b32 s38, -1, 0
	s_cmp_ge_u32 s23, s24
	s_cselect_b32 s23, -1, 0
	s_cmp_eq_u32 s36, s25
	s_wait_alu 0xfffe
	s_cselect_b32 s23, s23, s38
	s_wait_alu 0xfffe
	s_cmp_lg_u32 s23, 0
	s_cselect_b32 s39, s31, s39
	s_cselect_b32 s38, s29, s41
.LBB0_4:                                ;   in Loop: Header=BB0_2 Depth=1
	s_and_not1_b32 vcc_lo, exec_lo, s37
	s_cbranch_vccnz .LBB0_6
; %bb.5:                                ;   in Loop: Header=BB0_2 Depth=1
	v_cvt_f32_u32_e32 v1, s24
	s_sub_co_i32 s29, 0, s24
	s_mov_b32 s39, s17
	s_delay_alu instid0(VALU_DEP_1) | instskip(NEXT) | instid1(TRANS32_DEP_1)
	v_rcp_iflag_f32_e32 v1, v1
	v_mul_f32_e32 v1, 0x4f7ffffe, v1
	s_delay_alu instid0(VALU_DEP_1) | instskip(NEXT) | instid1(VALU_DEP_1)
	v_cvt_u32_f32_e32 v1, v1
	v_readfirstlane_b32 s23, v1
	s_delay_alu instid0(VALU_DEP_1) | instskip(NEXT) | instid1(SALU_CYCLE_1)
	s_mul_i32 s29, s29, s23
	s_mul_hi_u32 s29, s23, s29
	s_delay_alu instid0(SALU_CYCLE_1)
	s_add_co_i32 s23, s23, s29
	s_wait_alu 0xfffe
	s_mul_hi_u32 s23, s16, s23
	s_wait_alu 0xfffe
	s_mul_i32 s29, s23, s24
	s_add_co_i32 s31, s23, 1
	s_sub_co_i32 s29, s16, s29
	s_delay_alu instid0(SALU_CYCLE_1)
	s_sub_co_i32 s36, s29, s24
	s_cmp_ge_u32 s29, s24
	s_wait_alu 0xfffe
	s_cselect_b32 s23, s31, s23
	s_cselect_b32 s29, s36, s29
	s_wait_alu 0xfffe
	s_add_co_i32 s31, s23, 1
	s_cmp_ge_u32 s29, s24
	s_wait_alu 0xfffe
	s_cselect_b32 s38, s31, s23
.LBB0_6:                                ;   in Loop: Header=BB0_2 Depth=1
	s_add_nc_u64 s[36:37], s[10:11], s[34:35]
	s_add_nc_u64 s[34:35], s[26:27], s[34:35]
	s_load_b64 s[36:37], s[36:37], 0x0
	s_load_b64 s[40:41], s[34:35], 0x0
	s_mov_b32 s31, s17
	s_mul_u64 s[34:35], s[38:39], s[24:25]
	s_wait_alu 0xfffe
	v_cmp_ge_u64_e64 s23, s[30:31], s[6:7]
	s_mul_i32 s15, s15, s24
	s_sub_nc_u64 s[24:25], s[16:17], s[34:35]
	s_mov_b64 s[34:35], s[30:31]
	s_add_co_i32 s30, s30, 1
	s_delay_alu instid0(VALU_DEP_1)
	s_and_b32 vcc_lo, exec_lo, s23
	s_wait_kmcnt 0x0
	s_wait_alu 0xfffe
	s_mul_u64 s[36:37], s[36:37], s[24:25]
	s_mul_u64 s[24:25], s[40:41], s[24:25]
	s_add_nc_u64 s[12:13], s[36:37], s[12:13]
	s_wait_alu 0xfffe
	s_add_nc_u64 s[2:3], s[24:25], s[2:3]
	s_cbranch_vccnz .LBB0_9
; %bb.7:                                ;   in Loop: Header=BB0_2 Depth=1
	s_mov_b32 s16, s38
	s_branch .LBB0_2
.LBB0_8:
	s_mov_b64 s[12:13], s[16:17]
	s_branch .LBB0_10
.LBB0_9:
	s_cvt_f32_u32 s8, s15
	s_sub_co_i32 s9, 0, s15
	s_delay_alu instid0(SALU_CYCLE_2) | instskip(NEXT) | instid1(TRANS32_DEP_1)
	v_rcp_iflag_f32_e32 v1, s8
	v_readfirstlane_b32 s8, v1
	s_delay_alu instid0(VALU_DEP_1) | instskip(SKIP_1) | instid1(SALU_CYCLE_2)
	s_mul_f32 s8, s8, 0x4f7ffffe
	s_wait_alu 0xfffe
	s_cvt_u32_f32 s8, s8
	s_wait_alu 0xfffe
	s_delay_alu instid0(SALU_CYCLE_2)
	s_mul_i32 s9, s9, s8
	s_wait_alu 0xfffe
	s_mul_hi_u32 s16, s8, s9
	s_mov_b32 s9, 0
	s_wait_alu 0xfffe
	s_add_co_i32 s8, s8, s16
	s_wait_alu 0xfffe
	s_mul_u64 s[8:9], s[18:19], s[8:9]
	s_wait_alu 0xfffe
	s_mul_i32 s8, s9, s15
	s_add_co_i32 s16, s9, 1
	s_wait_alu 0xfffe
	s_sub_co_i32 s8, ttmp9, s8
	s_wait_alu 0xfffe
	s_sub_co_i32 s17, s8, s15
	s_cmp_ge_u32 s8, s15
	s_cselect_b32 s9, s16, s9
	s_wait_alu 0xfffe
	s_cselect_b32 s8, s17, s8
	s_add_co_i32 s16, s9, 1
	s_wait_alu 0xfffe
	s_cmp_ge_u32 s8, s15
	s_cselect_b32 s24, s16, s9
.LBB0_10:
	s_load_b128 s[16:19], s[0:1], 0x58
	s_lshl_b64 s[0:1], s[6:7], 3
	s_mov_b32 s25, 0
	s_add_nc_u64 s[6:7], s[10:11], s[0:1]
	v_lshl_add_u32 v3, v0, 2, 0
	s_load_b64 s[8:9], s[6:7], 0x0
	s_add_co_i32 s10, s28, 1
	s_add_nc_u64 s[6:7], s[26:27], s[0:1]
	s_cmp_le_u32 s10, s33
	s_wait_kmcnt 0x0
	s_mul_u64 s[0:1], s[8:9], s[24:25]
	s_delay_alu instid0(SALU_CYCLE_1)
	s_add_nc_u64 s[8:9], s[0:1], s[12:13]
	s_mov_b32 s0, -1
	s_cbranch_scc0 .LBB0_12
; %bb.11:
	v_mad_co_u64_u32 v[1:2], null, s20, v0, 0
	v_add_nc_u32_e32 v10, 0x79, v0
	v_cmp_gt_u32_e32 vcc_lo, 0x3c8, v0
	s_wait_alu 0xfffe
	s_lshl_b64 s[0:1], s[8:9], 2
	v_mov_b32_e32 v15, 0x25d
	s_add_nc_u64 s[10:11], s[16:17], s[0:1]
	v_mad_co_u64_u32 v[4:5], null, s20, v10, 0
	v_mad_co_u64_u32 v[8:9], null, s21, v0, v[2:3]
	v_add_nc_u32_e32 v11, 0xf2, v0
	v_mov_b32_e32 v2, 0x16b
	s_delay_alu instid0(VALU_DEP_1) | instskip(NEXT) | instid1(VALU_DEP_3)
	v_dual_cndmask_b32 v31, 0xfffffc38, v2 :: v_dual_mov_b32 v2, v8
	v_mad_co_u64_u32 v[6:7], null, s20, v11, 0
	s_delay_alu instid0(VALU_DEP_2) | instskip(NEXT) | instid1(VALU_DEP_3)
	v_add_nc_u32_e32 v13, v31, v0
	v_lshlrev_b64_e32 v[1:2], 2, v[1:2]
	s_delay_alu instid0(VALU_DEP_3) | instskip(NEXT) | instid1(VALU_DEP_2)
	v_mad_co_u64_u32 v[8:9], null, s21, v10, v[5:6]
	v_add_co_u32 v1, vcc_lo, s10, v1
	s_wait_alu 0xfffd
	s_delay_alu instid0(VALU_DEP_3) | instskip(SKIP_1) | instid1(VALU_DEP_4)
	v_add_co_ci_u32_e32 v2, vcc_lo, s11, v2, vcc_lo
	v_cmp_gt_u32_e32 vcc_lo, 0x34f, v0
	v_mad_co_u64_u32 v[9:10], null, s21, v11, v[7:8]
	v_mad_co_u64_u32 v[10:11], null, s20, v13, 0
	v_dual_mov_b32 v5, v8 :: v_dual_mov_b32 v12, 0x1e4
	s_delay_alu instid0(VALU_DEP_3) | instskip(NEXT) | instid1(VALU_DEP_2)
	v_mov_b32_e32 v7, v9
	v_lshlrev_b64_e32 v[4:5], 2, v[4:5]
	s_delay_alu instid0(VALU_DEP_4) | instskip(NEXT) | instid1(VALU_DEP_3)
	v_mov_b32_e32 v8, v11
	v_lshlrev_b64_e32 v[6:7], 2, v[6:7]
	s_delay_alu instid0(VALU_DEP_2)
	v_mad_co_u64_u32 v[8:9], null, s21, v13, v[8:9]
	s_wait_alu 0xfffd
	v_cndmask_b32_e32 v32, 0xfffffcb1, v12, vcc_lo
	v_add_co_u32 v4, vcc_lo, s10, v4
	s_wait_alu 0xfffd
	v_add_co_ci_u32_e32 v5, vcc_lo, s11, v5, vcc_lo
	v_cmp_lt_u32_e32 vcc_lo, 0x3c7, v0
	v_mov_b32_e32 v11, v8
	v_dual_mov_b32 v9, 0 :: v_dual_add_nc_u32 v14, v32, v0
	v_add_co_u32 v6, s0, s10, v6
	s_delay_alu instid0(VALU_DEP_3)
	v_lshlrev_b64_e32 v[10:11], 2, v[10:11]
	s_wait_alu 0xfffd
	v_cndmask_b32_e64 v33, 0, 1, vcc_lo
	v_cndmask_b32_e64 v8, 0, s22, vcc_lo
	v_cmp_gt_u32_e32 vcc_lo, 0x2d6, v0
	v_mad_co_u64_u32 v[12:13], null, s20, v14, 0
	v_add_co_ci_u32_e64 v7, s0, s11, v7, s0
	s_wait_alu 0xfffd
	v_cndmask_b32_e32 v34, 0xfffffd2a, v15, vcc_lo
	v_add_co_u32 v16, vcc_lo, s10, v10
	s_wait_alu 0xfffd
	v_add_co_ci_u32_e32 v17, vcc_lo, s11, v11, vcc_lo
	v_lshlrev_b64_e32 v[10:11], 2, v[8:9]
	v_cmp_lt_u32_e32 vcc_lo, 0x34e, v0
	v_mad_co_u64_u32 v[13:14], null, s21, v14, v[13:14]
	s_delay_alu instid0(VALU_DEP_3)
	v_add_co_u32 v10, s0, v16, v10
	s_wait_alu 0xfffd
	v_cndmask_b32_e64 v35, 0, 1, vcc_lo
	v_mov_b32_e32 v16, 0x2d6
	v_cndmask_b32_e64 v8, 0, s22, vcc_lo
	v_cmp_gt_u32_e32 vcc_lo, 0x25d, v0
	v_lshlrev_b64_e32 v[12:13], 2, v[12:13]
	s_wait_alu 0xf1ff
	v_add_co_ci_u32_e64 v11, s0, v17, v11, s0
	s_wait_alu 0xfffd
	v_cndmask_b32_e32 v36, 0xfffffda3, v16, vcc_lo
	s_delay_alu instid0(VALU_DEP_3) | instskip(SKIP_2) | instid1(VALU_DEP_3)
	v_add_co_u32 v19, vcc_lo, s10, v12
	s_wait_alu 0xfffd
	v_add_co_ci_u32_e32 v20, vcc_lo, s11, v13, vcc_lo
	v_add_nc_u32_e32 v21, v36, v0
	v_add_nc_u32_e32 v18, v34, v0
	v_cmp_lt_u32_e32 vcc_lo, 0x2d5, v0
	v_lshlrev_b64_e32 v[12:13], 2, v[8:9]
	s_delay_alu instid0(VALU_DEP_3)
	v_mad_co_u64_u32 v[14:15], null, s20, v18, 0
	s_wait_alu 0xfffd
	v_cndmask_b32_e64 v37, 0, 1, vcc_lo
	v_cndmask_b32_e64 v8, 0, s22, vcc_lo
	v_cmp_gt_u32_e32 vcc_lo, 0x1e4, v0
	v_add_co_u32 v12, s0, v19, v12
	s_wait_alu 0xf1ff
	v_add_co_ci_u32_e64 v13, s0, v20, v13, s0
	v_mad_co_u64_u32 v[15:16], null, s21, v18, v[15:16]
	v_mov_b32_e32 v18, 0x34f
	v_mad_co_u64_u32 v[16:17], null, s20, v21, 0
	v_cmp_gt_u32_e64 s0, 0x16b, v0
	s_wait_alu 0xfffd
	s_delay_alu instid0(VALU_DEP_3) | instskip(SKIP_2) | instid1(VALU_DEP_2)
	v_cndmask_b32_e32 v38, 0xfffffe1c, v18, vcc_lo
	v_lshlrev_b64_e32 v[18:19], 2, v[8:9]
	v_lshlrev_b64_e32 v[14:15], 2, v[14:15]
	v_mad_co_u64_u32 v[20:21], null, s21, v21, v[17:18]
	s_delay_alu instid0(VALU_DEP_4) | instskip(NEXT) | instid1(VALU_DEP_3)
	v_add_nc_u32_e32 v21, v38, v0
	v_add_co_u32 v8, vcc_lo, s10, v14
	s_wait_alu 0xfffd
	s_delay_alu instid0(VALU_DEP_4) | instskip(NEXT) | instid1(VALU_DEP_3)
	v_add_co_ci_u32_e32 v17, vcc_lo, s11, v15, vcc_lo
	v_mad_co_u64_u32 v[14:15], null, s20, v21, 0
	s_delay_alu instid0(VALU_DEP_3) | instskip(SKIP_1) | instid1(VALU_DEP_3)
	v_add_co_u32 v18, vcc_lo, v8, v18
	s_wait_alu 0xfffd
	v_add_co_ci_u32_e32 v19, vcc_lo, v17, v19, vcc_lo
	v_dual_mov_b32 v17, v20 :: v_dual_mov_b32 v20, 0x3c8
	v_cmp_lt_u32_e32 vcc_lo, 0x25c, v0
	v_mov_b32_e32 v8, v15
	s_delay_alu instid0(VALU_DEP_3)
	v_lshlrev_b64_e32 v[15:16], 2, v[16:17]
	s_wait_alu 0xf1ff
	v_cndmask_b32_e64 v40, 0xfffffe95, v20, s0
	s_wait_alu 0xfffd
	v_cndmask_b32_e64 v39, 0, 1, vcc_lo
	v_mad_co_u64_u32 v[20:21], null, s21, v21, v[8:9]
	v_cndmask_b32_e64 v8, 0, s22, vcc_lo
	v_add_co_u32 v23, vcc_lo, s10, v15
	s_wait_alu 0xfffd
	v_add_co_ci_u32_e32 v24, vcc_lo, s11, v16, vcc_lo
	s_delay_alu instid0(VALU_DEP_3) | instskip(SKIP_3) | instid1(VALU_DEP_4)
	v_lshlrev_b64_e32 v[16:17], 2, v[8:9]
	v_cmp_lt_u32_e32 vcc_lo, 0x1e3, v0
	v_add_nc_u32_e32 v22, v40, v0
	v_mov_b32_e32 v15, v20
	v_add_co_u32 v16, s0, v23, v16
	s_wait_alu 0xfffd
	v_cndmask_b32_e64 v41, 0, 1, vcc_lo
	v_cndmask_b32_e64 v8, 0, s22, vcc_lo
	v_mov_b32_e32 v23, 0x441
	v_cmp_gt_u32_e32 vcc_lo, 0xf2, v0
	s_wait_alu 0xf1ff
	v_add_co_ci_u32_e64 v17, s0, v24, v17, s0
	v_mov_b32_e32 v24, 0x4ba
	v_mad_co_u64_u32 v[20:21], null, s20, v22, 0
	s_wait_alu 0xfffd
	v_cndmask_b32_e32 v42, 0xffffff0e, v23, vcc_lo
	v_cmp_gt_u32_e32 vcc_lo, 0x79, v0
	v_lshlrev_b64_e32 v[14:15], 2, v[14:15]
	s_delay_alu instid0(VALU_DEP_3) | instskip(SKIP_3) | instid1(VALU_DEP_4)
	v_add_nc_u32_e32 v28, v42, v0
	s_wait_alu 0xfffd
	v_cndmask_b32_e32 v43, 0xffffff87, v24, vcc_lo
	v_mad_co_u64_u32 v[21:22], null, s21, v22, v[21:22]
	v_add_co_u32 v26, vcc_lo, s10, v14
	s_delay_alu instid0(VALU_DEP_3)
	v_add_nc_u32_e32 v29, v43, v0
	s_wait_alu 0xfffd
	v_add_co_ci_u32_e32 v27, vcc_lo, s11, v15, vcc_lo
	v_lshlrev_b64_e32 v[14:15], 2, v[8:9]
	v_mad_co_u64_u32 v[22:23], null, s20, v28, 0
	v_mad_co_u64_u32 v[24:25], null, s20, v29, 0
	v_cmp_lt_u32_e32 vcc_lo, 0x16a, v0
	s_delay_alu instid0(VALU_DEP_4)
	v_add_co_u32 v14, s0, v26, v14
	s_wait_alu 0xf1ff
	v_add_co_ci_u32_e64 v15, s0, v27, v15, s0
	v_lshlrev_b64_e32 v[20:21], 2, v[20:21]
	v_mad_co_u64_u32 v[26:27], null, s21, v28, v[23:24]
	s_wait_alu 0xfffd
	v_cndmask_b32_e64 v8, 0, s22, vcc_lo
	v_cndmask_b32_e64 v44, 0, 1, vcc_lo
	s_delay_alu instid0(VALU_DEP_2) | instskip(NEXT) | instid1(VALU_DEP_4)
	v_lshlrev_b64_e32 v[27:28], 2, v[8:9]
	v_mad_co_u64_u32 v[29:30], null, s21, v29, v[25:26]
	v_add_co_u32 v8, vcc_lo, s10, v20
	v_mov_b32_e32 v23, v26
	s_wait_alu 0xfffd
	v_add_co_ci_u32_e32 v21, vcc_lo, s11, v21, vcc_lo
	v_cmp_lt_u32_e32 vcc_lo, 0xf1, v0
	v_mov_b32_e32 v25, v29
	v_lshlrev_b64_e32 v[22:23], 2, v[22:23]
	v_add_co_u32 v20, s0, v8, v27
	s_wait_alu 0xfffd
	v_cndmask_b32_e64 v26, 0, 1, vcc_lo
	v_cndmask_b32_e64 v8, 0, s22, vcc_lo
	v_cmp_lt_u32_e32 vcc_lo, 0x78, v0
	s_wait_alu 0xf1ff
	v_add_co_ci_u32_e64 v21, s0, v21, v28, s0
	v_add_co_u32 v27, s0, s10, v22
	v_lshlrev_b64_e32 v[24:25], 2, v[24:25]
	s_wait_alu 0xf1ff
	v_add_co_ci_u32_e64 v28, s0, s11, v23, s0
	v_lshlrev_b64_e32 v[22:23], 2, v[8:9]
	s_wait_alu 0xfffd
	v_cndmask_b32_e64 v8, 0, s22, vcc_lo
	v_cndmask_b32_e64 v29, 0, 1, vcc_lo
	v_add_co_u32 v24, vcc_lo, s10, v24
	s_wait_alu 0xfffd
	v_add_co_ci_u32_e32 v25, vcc_lo, s11, v25, vcc_lo
	v_lshlrev_b64_e32 v[8:9], 2, v[8:9]
	v_add_co_u32 v22, vcc_lo, v27, v22
	s_wait_alu 0xfffd
	v_add_co_ci_u32_e32 v23, vcc_lo, v28, v23, vcc_lo
	v_lshlrev_b32_e32 v27, 2, v40
	s_delay_alu instid0(VALU_DEP_4)
	v_add_co_u32 v8, vcc_lo, v24, v8
	s_wait_alu 0xfffd
	v_add_co_ci_u32_e32 v9, vcc_lo, v25, v9, vcc_lo
	s_clause 0xa
	global_load_b32 v1, v[1:2], off
	global_load_b32 v2, v[4:5], off
	;; [unrolled: 1-line block ×11, first 2 shown]
	v_lshlrev_b32_e32 v14, 2, v33
	v_lshl_add_u32 v9, v0, 2, 0
	v_lshlrev_b32_e32 v22, 2, v31
	v_lshlrev_b32_e32 v15, 2, v35
	v_lshlrev_b32_e32 v23, 2, v32
	v_lshlrev_b32_e32 v16, 2, v37
	v_lshlrev_b32_e32 v24, 2, v34
	v_lshlrev_b32_e32 v17, 2, v39
	v_lshlrev_b32_e32 v18, 2, v41
	v_lshlrev_b32_e32 v19, 2, v44
	v_lshlrev_b32_e32 v20, 2, v26
	v_lshlrev_b32_e32 v21, 2, v29
	v_lshlrev_b32_e32 v25, 2, v36
	v_lshlrev_b32_e32 v26, 2, v38
	v_lshlrev_b32_e32 v28, 2, v42
	v_lshlrev_b32_e32 v29, 2, v43
	v_add3_u32 v14, v9, v22, v14
	v_add3_u32 v15, v9, v23, v15
	;; [unrolled: 1-line block ×3, first 2 shown]
	s_mov_b32 s0, s25
	v_add3_u32 v17, v9, v25, v17
	v_add3_u32 v18, v9, v26, v18
	;; [unrolled: 1-line block ×5, first 2 shown]
	s_wait_loadcnt 0x9
	ds_store_2addr_b32 v9, v1, v2 offset1:121
	s_wait_loadcnt 0x8
	ds_store_b32 v9, v4 offset:968
	s_wait_loadcnt 0x7
	ds_store_b32 v14, v5
	s_wait_loadcnt 0x6
	ds_store_b32 v15, v6
	;; [unrolled: 2-line block ×8, first 2 shown]
.LBB0_12:
	s_load_b64 s[6:7], s[6:7], 0x0
	s_and_not1_b32 vcc_lo, exec_lo, s0
	s_wait_alu 0xfffe
	s_cbranch_vccnz .LBB0_16
; %bb.13:
	v_mad_co_u64_u32 v[1:2], null, s20, v0, 0
	s_lshl_b64 s[0:1], s[8:9], 2
	s_mul_u64 s[8:9], s[20:21], 0x1e4
	s_wait_alu 0xfffe
	s_add_nc_u64 s[0:1], s[16:17], s[0:1]
	s_delay_alu instid0(VALU_DEP_1) | instskip(NEXT) | instid1(VALU_DEP_1)
	v_mad_co_u64_u32 v[4:5], null, s21, v0, v[2:3]
	v_dual_mov_b32 v5, v3 :: v_dual_mov_b32 v2, v4
	v_mov_b32_e32 v4, v0
	s_delay_alu instid0(VALU_DEP_2) | instskip(SKIP_1) | instid1(VALU_DEP_1)
	v_lshlrev_b64_e32 v[1:2], 2, v[1:2]
	s_wait_alu 0xfffe
	v_add_co_u32 v1, vcc_lo, s0, v1
	s_wait_alu 0xfffd
	s_delay_alu instid0(VALU_DEP_2)
	v_add_co_ci_u32_e32 v2, vcc_lo, s1, v2, vcc_lo
	s_mov_b32 s1, 0
.LBB0_14:                               ; =>This Inner Loop Header: Depth=1
	global_load_b32 v6, v[1:2], off
	v_add_nc_u32_e32 v4, 0x79, v4
	v_add_co_u32 v1, vcc_lo, v1, s8
	s_wait_alu 0xfffd
	v_add_co_ci_u32_e32 v2, vcc_lo, s9, v2, vcc_lo
	s_delay_alu instid0(VALU_DEP_3) | instskip(SKIP_1) | instid1(VALU_DEP_1)
	v_cmp_lt_u32_e64 s0, 0x532, v4
	s_wait_alu 0xfffe
	s_or_b32 s1, s0, s1
	s_wait_loadcnt 0x0
	ds_store_b32 v5, v6
	v_add_nc_u32_e32 v5, 0x1e4, v5
	s_wait_alu 0xfffe
	s_and_not1_b32 exec_lo, exec_lo, s1
	s_cbranch_execnz .LBB0_14
; %bb.15:
	s_or_b32 exec_lo, exec_lo, s1
.LBB0_16:
	global_wb scope:SCOPE_SE
	s_wait_dscnt 0x0
	s_wait_kmcnt 0x0
	s_barrier_signal -1
	s_barrier_wait -1
	global_inv scope:SCOPE_SE
	ds_load_2addr_b32 v[6:7], v3 offset1:121
	v_add_nc_u32_e32 v1, 0x200, v3
	v_add_nc_u32_e32 v2, 0x600, v3
	;; [unrolled: 1-line block ×4, first 2 shown]
	ds_load_b32 v17, v3 offset:4840
	ds_load_2addr_b32 v[9:10], v1 offset0:114 offset1:235
	ds_load_2addr_b32 v[11:12], v2 offset0:100 offset1:221
	;; [unrolled: 1-line block ×4, first 2 shown]
	v_mad_u32_u24 v8, v0, 40, v3
	global_wb scope:SCOPE_SE
	s_wait_dscnt 0x0
	s_barrier_signal -1
	s_barrier_wait -1
	global_inv scope:SCOPE_SE
	s_lshl_b64 s[2:3], s[2:3], 2
	v_alignbit_b32 v19, s0, v7, 16
	v_pk_add_f16 v20, v7, v6 op_sel_hi:[1,0]
	v_lshrrev_b32_e32 v18, 16, v6
	s_delay_alu instid0(VALU_DEP_3) | instskip(SKIP_1) | instid1(VALU_DEP_4)
	v_pk_add_f16 v19, v19, v6 op_sel:[0,1] op_sel_hi:[1,0]
	v_alignbit_b32 v23, s0, v9, 16
	v_pk_add_f16 v20, v20, v9
	v_alignbit_b32 v24, s0, v10, 16
	v_alignbit_b32 v25, s0, v11, 16
	;; [unrolled: 1-line block ×3, first 2 shown]
	v_pk_add_f16 v19, v19, v23
	v_pk_add_f16 v20, v20, v10
	v_alignbit_b32 v27, s0, v13, 16
	v_alignbit_b32 v28, s0, v14, 16
	v_pk_add_f16 v22, v17, v7
	v_pk_add_f16 v19, v19, v24
	;; [unrolled: 1-line block ×3, first 2 shown]
	v_pk_add_f16 v7, v7, v17 neg_lo:[0,1] neg_hi:[0,1]
	v_alignbit_b32 v29, s0, v15, 16
	v_lshrrev_b32_e32 v30, 16, v22
	v_pk_add_f16 v19, v19, v25
	v_pk_add_f16 v20, v20, v12
	v_lshrrev_b32_e32 v23, 16, v7
	v_alignbit_b32 v31, s0, v16, 16
	v_alignbit_b32 v21, s0, v17, 16
	v_pk_add_f16 v19, v19, v26
	v_pk_add_f16 v20, v20, v13
	v_mul_f16_e32 v33, 0xbb47, v23
	v_mul_f16_e32 v34, 0xbbeb, v23
	;; [unrolled: 1-line block ×3, first 2 shown]
	v_pk_add_f16 v19, v19, v27
	v_pk_add_f16 v20, v20, v14
	v_mul_f16_e32 v32, 0x3abb, v30
	v_mul_f16_e32 v25, 0x36a6, v30
	v_fmamk_f16 v27, v22, 0x36a6, v33
	v_pk_add_f16 v19, v19, v28
	v_pk_add_f16 v20, v20, v15
	v_fma_f16 v28, v22, 0x36a6, -v33
	v_fmamk_f16 v33, v22, 0xb08e, v34
	v_mul_f16_e32 v30, 0xb93d, v30
	v_pk_add_f16 v19, v19, v29
	v_pk_add_f16 v20, v20, v16
	v_fmamk_f16 v29, v7, 0x3beb, v35
	v_fmac_f16_e32 v35, 0xbbeb, v7
	v_mul_f16_e32 v24, 0xb853, v23
	v_pk_add_f16 v19, v19, v31
	v_pk_add_f16 v17, v20, v17
	v_fmamk_f16 v36, v7, 0x3853, v32
	v_fmac_f16_e32 v32, 0xb853, v7
	v_fmamk_f16 v37, v7, 0x3b47, v25
	v_pk_add_f16 v19, v19, v21
	v_add_f16_e32 v21, v28, v6
	v_add_f16_e32 v28, v33, v6
	;; [unrolled: 1-line block ×3, first 2 shown]
	v_pk_add_f16 v35, v9, v16 neg_lo:[0,1] neg_hi:[0,1]
	v_perm_b32 v17, v17, v19, 0x1000504
	v_mul_f16_e32 v19, 0xba0c, v23
	v_fma_f16 v23, v22, 0xb08e, -v34
	v_fmamk_f16 v34, v7, 0x3a0c, v30
	v_pk_add_f16 v9, v16, v9
	v_fmamk_f16 v26, v22, 0x3abb, v24
	v_fma_f16 v24, v22, 0x3abb, -v24
	v_fmac_f16_e32 v25, 0xbb47, v7
	v_add_f16_e32 v16, v34, v18
	v_lshrrev_b32_e32 v34, 16, v35
	v_add_f16_e32 v31, v32, v18
	v_add_f16_e32 v20, v37, v18
	v_fmamk_f16 v32, v22, 0xb93d, v19
	v_fma_f16 v19, v22, 0xb93d, -v19
	v_pk_mul_f16 v22, 0xbbad, v22 op_sel_hi:[0,1]
	v_lshrrev_b32_e32 v37, 16, v9
	v_fmac_f16_e32 v30, 0xba0c, v7
	v_mul_f16_e32 v38, 0xbb47, v34
	v_add_f16_e32 v26, v26, v6
	v_add_f16_e32 v36, v36, v18
	;; [unrolled: 1-line block ×4, first 2 shown]
	v_pk_fma_f16 v39, 0xb482, v7, v22 op_sel:[0,0,1] op_sel_hi:[0,1,0]
	v_pk_fma_f16 v7, 0xb482, v7, v22 op_sel:[0,0,1] op_sel_hi:[0,1,0] neg_lo:[0,1,0] neg_hi:[0,1,0]
	v_mul_f16_e32 v22, 0x36a6, v37
	v_add_f16_e32 v18, v30, v18
	v_fmamk_f16 v30, v9, 0x36a6, v38
	v_add_f16_e32 v24, v24, v6
	v_add_f16_e32 v27, v27, v6
	;; [unrolled: 1-line block ×5, first 2 shown]
	v_pk_add_f16 v39, v39, v6 op_sel:[0,1] op_sel_hi:[1,0]
	v_pk_add_f16 v6, v7, v6 op_sel:[0,1] op_sel_hi:[1,0]
	v_fmamk_f16 v7, v35, 0x3b47, v22
	v_mul_f16_e32 v40, 0xba0c, v34
	v_add_f16_e32 v26, v30, v26
	v_fma_f16 v30, v9, 0x36a6, -v38
	v_fmac_f16_e32 v22, 0xbb47, v35
	v_mul_f16_e32 v38, 0xb93d, v37
	v_add_f16_e32 v7, v7, v36
	v_fmamk_f16 v36, v9, 0xb93d, v40
	v_mul_f16_e32 v41, 0xbbad, v37
	v_add_f16_e32 v22, v22, v31
	v_fmamk_f16 v31, v35, 0x3a0c, v38
	v_add_f16_e32 v24, v30, v24
	v_mul_f16_e32 v30, 0x3482, v34
	v_add_f16_e32 v27, v36, v27
	v_fma_f16 v36, v9, 0xb93d, -v40
	v_add_f16_e32 v20, v31, v20
	v_fmamk_f16 v31, v35, 0xb482, v41
	v_mul_f16_e32 v34, 0x3beb, v34
	v_fmamk_f16 v40, v9, 0xbbad, v30
	v_add_f16_e32 v21, v36, v21
	v_fma_f16 v30, v9, 0xbbad, -v30
	v_fmac_f16_e32 v41, 0x3482, v35
	v_mul_f16_e32 v36, 0xb08e, v37
	v_add_f16_e32 v29, v31, v29
	v_fmamk_f16 v31, v9, 0xb08e, v34
	v_add_f16_e32 v23, v30, v23
	v_add_f16_e32 v30, v41, v33
	v_fmamk_f16 v33, v35, 0xbbeb, v36
	v_pk_add_f16 v37, v10, v15 neg_lo:[0,1] neg_hi:[0,1]
	v_add_f16_e32 v31, v31, v32
	v_fma_f16 v32, v9, 0xb08e, -v34
	v_pk_add_f16 v10, v15, v10
	v_add_f16_e32 v15, v33, v16
	v_lshrrev_b32_e32 v16, 16, v37
	v_pk_mul_f16 v9, 0x3abb, v9 op_sel_hi:[0,1]
	v_add_f16_e32 v19, v32, v19
	v_lshrrev_b32_e32 v32, 16, v10
	v_fmac_f16_e32 v38, 0xba0c, v35
	v_fmac_f16_e32 v36, 0x3beb, v35
	v_mul_f16_e32 v33, 0xbbeb, v16
	v_pk_fma_f16 v34, 0x3853, v35, v9 op_sel:[0,0,1] op_sel_hi:[0,1,0]
	v_pk_fma_f16 v9, 0x3853, v35, v9 op_sel:[0,0,1] op_sel_hi:[0,1,0] neg_lo:[0,1,0] neg_hi:[0,1,0]
	v_mul_f16_e32 v35, 0xb08e, v32
	v_add_f16_e32 v25, v38, v25
	v_add_f16_e32 v18, v36, v18
	v_fmamk_f16 v36, v10, 0xb08e, v33
	v_pk_add_f16 v6, v9, v6
	v_fmamk_f16 v9, v37, 0x3beb, v35
	v_mul_f16_e32 v38, 0x3482, v16
	v_fma_f16 v33, v10, 0xb08e, -v33
	v_add_f16_e32 v26, v36, v26
	v_fmac_f16_e32 v35, 0xbbeb, v37
	v_add_f16_e32 v7, v9, v7
	v_fmamk_f16 v9, v10, 0xbbad, v38
	v_mul_f16_e32 v36, 0xbbad, v32
	v_add_f16_e32 v24, v33, v24
	v_mul_f16_e32 v33, 0x3b47, v16
	v_add_f16_e32 v28, v40, v28
	v_pk_add_f16 v34, v34, v39
	v_add_f16_e32 v22, v35, v22
	v_add_f16_e32 v9, v9, v27
	v_fmamk_f16 v27, v37, 0xb482, v36
	v_fma_f16 v35, v10, 0xbbad, -v38
	v_fmamk_f16 v38, v10, 0x36a6, v33
	v_mul_f16_e32 v39, 0x36a6, v32
	v_mul_f16_e32 v16, 0xb853, v16
	v_add_f16_e32 v20, v27, v20
	v_add_f16_e32 v21, v35, v21
	;; [unrolled: 1-line block ×3, first 2 shown]
	v_fmamk_f16 v28, v37, 0xbb47, v39
	v_fma_f16 v33, v10, 0x36a6, -v33
	v_mul_f16_e32 v32, 0x3abb, v32
	v_pk_add_f16 v35, v11, v14 neg_lo:[0,1] neg_hi:[0,1]
	v_pk_add_f16 v11, v14, v11
	v_add_f16_e32 v28, v28, v29
	v_fmamk_f16 v29, v10, 0x3abb, v16
	v_fma_f16 v16, v10, 0x3abb, -v16
	v_add_f16_e32 v23, v33, v23
	v_fmamk_f16 v33, v37, 0x3853, v32
	v_lshrrev_b32_e32 v14, 16, v35
	v_pk_mul_f16 v10, 0xb93d, v10 op_sel_hi:[0,1]
	v_add_f16_e32 v16, v16, v19
	v_fmac_f16_e32 v32, 0xb853, v37
	v_lshrrev_b32_e32 v19, 16, v11
	v_fmac_f16_e32 v36, 0x3482, v37
	v_add_f16_e32 v29, v29, v31
	v_add_f16_e32 v15, v33, v15
	v_mul_f16_e32 v31, 0xba0c, v14
	v_pk_fma_f16 v33, 0xba0c, v37, v10 op_sel:[0,0,1] op_sel_hi:[0,1,0]
	v_pk_fma_f16 v10, 0xba0c, v37, v10 op_sel:[0,0,1] op_sel_hi:[0,1,0] neg_lo:[0,1,0] neg_hi:[0,1,0]
	v_add_f16_e32 v18, v32, v18
	v_mul_f16_e32 v32, 0xb93d, v19
	v_add_f16_e32 v25, v36, v25
	v_fmamk_f16 v36, v11, 0xb93d, v31
	v_pk_add_f16 v33, v33, v34
	v_pk_add_f16 v6, v10, v6
	v_mul_f16_e32 v10, 0x3beb, v14
	v_fmamk_f16 v34, v35, 0x3a0c, v32
	v_add_f16_e32 v26, v36, v26
	v_fma_f16 v31, v11, 0xb93d, -v31
	v_fmac_f16_e32 v32, 0xba0c, v35
	v_fmamk_f16 v36, v11, 0xb08e, v10
	v_add_f16_e32 v7, v34, v7
	v_mul_f16_e32 v34, 0xb08e, v19
	v_add_f16_e32 v24, v31, v24
	v_add_f16_e32 v22, v32, v22
	;; [unrolled: 1-line block ×3, first 2 shown]
	v_mul_f16_e32 v31, 0xb853, v14
	v_fmamk_f16 v32, v35, 0xbbeb, v34
	v_fma_f16 v10, v11, 0xb08e, -v10
	v_fmac_f16_e32 v34, 0x3beb, v35
	v_mul_f16_e32 v36, 0x3abb, v19
	v_fmac_f16_e32 v39, 0x3b47, v37
	v_fmamk_f16 v37, v11, 0x3abb, v31
	v_add_f16_e32 v10, v10, v21
	v_add_f16_e32 v21, v34, v25
	v_fmamk_f16 v25, v35, 0x3853, v36
	v_mul_f16_e32 v14, 0xb482, v14
	v_fma_f16 v31, v11, 0x3abb, -v31
	v_mul_f16_e32 v19, 0xbbad, v19
	v_add_f16_e32 v20, v32, v20
	v_add_f16_e32 v25, v25, v28
	v_fmamk_f16 v28, v11, 0xbbad, v14
	v_add_f16_e32 v23, v31, v23
	v_pk_add_f16 v31, v12, v13 neg_lo:[0,1] neg_hi:[0,1]
	v_fma_f16 v14, v11, 0xbbad, -v14
	v_pk_add_f16 v12, v13, v12
	v_fmamk_f16 v32, v35, 0x3482, v19
	v_pk_mul_f16 v11, 0x36a6, v11 op_sel_hi:[0,1]
	v_lshrrev_b32_e32 v13, 16, v31
	v_add_f16_e32 v14, v14, v16
	v_lshrrev_b32_e32 v16, 16, v12
	v_add_f16_e32 v15, v32, v15
	v_pk_fma_f16 v32, 0x3b47, v35, v11 op_sel:[0,0,1] op_sel_hi:[0,1,0]
	v_pk_fma_f16 v11, 0x3b47, v35, v11 op_sel:[0,0,1] op_sel_hi:[0,1,0] neg_lo:[0,1,0] neg_hi:[0,1,0]
	v_add_f16_e32 v28, v28, v29
	v_mul_f16_e32 v34, 0xbbad, v16
	v_mul_f16_e32 v29, 0xb482, v13
	v_fmac_f16_e32 v19, 0xb482, v35
	v_pk_add_f16 v11, v11, v6
	v_fmac_f16_e32 v36, 0xb853, v35
	v_fmamk_f16 v6, v31, 0x3482, v34
	v_fmac_f16_e32 v34, 0xb482, v31
	v_fmamk_f16 v35, v12, 0xbbad, v29
	v_add_f16_e32 v18, v19, v18
	v_pk_add_f16 v19, v32, v33
	v_add_f16_e32 v7, v6, v7
	v_mul_f16_e32 v6, 0x3abb, v16
	v_mul_f16_e32 v32, 0x3853, v13
	v_fma_f16 v29, v12, 0xbbad, -v29
	v_add_f16_e32 v22, v34, v22
	v_add_f16_e32 v30, v39, v30
	v_fmamk_f16 v34, v31, 0xb853, v6
	v_fmamk_f16 v33, v12, 0x3abb, v32
	v_add_f16_e32 v24, v29, v24
	v_mul_f16_e32 v29, 0xba0c, v13
	v_fmac_f16_e32 v6, 0x3853, v31
	v_add_f16_e32 v20, v34, v20
	v_mul_f16_e32 v34, 0xb93d, v16
	v_add_f16_e32 v30, v36, v30
	v_add_f16_e32 v9, v33, v9
	v_fma_f16 v32, v12, 0x3abb, -v32
	v_fmamk_f16 v33, v12, 0xb93d, v29
	v_add_f16_e32 v21, v6, v21
	v_mul_f16_e32 v6, 0x3b47, v13
	v_fmamk_f16 v13, v31, 0x3a0c, v34
	v_fma_f16 v29, v12, 0xb93d, -v29
	v_fmac_f16_e32 v34, 0xba0c, v31
	v_add_f16_e32 v10, v32, v10
	v_mul_f16_e32 v16, 0x36a6, v16
	v_fmamk_f16 v32, v12, 0x36a6, v6
	v_add_f16_e32 v23, v29, v23
	v_add_f16_e32 v29, v34, v30
	v_pk_mul_f16 v30, 0xb08e, v12 op_sel_hi:[0,1]
	v_fma_f16 v6, v12, 0x36a6, -v6
	v_mul_u32_u24_e32 v12, 0x1746, v0
	v_add_f16_e32 v13, v13, v25
	v_fmamk_f16 v25, v31, 0xbb47, v16
	v_fmac_f16_e32 v16, 0x3b47, v31
	v_add_f16_e32 v14, v6, v14
	v_lshrrev_b32_e32 v6, 16, v12
	v_add_f16_e32 v26, v35, v26
	v_add_f16_e32 v15, v25, v15
	v_pk_fma_f16 v25, 0xbbeb, v31, v30 op_sel:[0,0,1] op_sel_hi:[0,1,0]
	v_add_f16_e32 v16, v16, v18
	v_mul_lo_u16 v18, v6, 11
	v_add_f16_e32 v27, v37, v27
	v_pk_fma_f16 v30, 0xbbeb, v31, v30 op_sel:[0,0,1] op_sel_hi:[0,1,0] neg_lo:[0,1,0] neg_hi:[0,1,0]
	v_pk_add_f16 v12, v25, v19
	v_pack_b32_f16 v19, v26, v7
	v_sub_nc_u16 v7, v0, v18
	v_add_f16_e32 v27, v33, v27
	v_add_f16_e32 v28, v32, v28
	v_pk_add_f16 v11, v30, v11
	v_pack_b32_f16 v9, v9, v20
	v_and_b32_e32 v7, 0xffff, v7
	v_pack_b32_f16 v13, v27, v13
	v_pack_b32_f16 v15, v28, v15
	v_alignbit_b32 v18, v12, v11, 16
	v_alignbit_b32 v11, v11, v12, 16
	v_mul_u32_u24_e32 v20, 10, v7
	v_pack_b32_f16 v12, v23, v29
	v_pack_b32_f16 v14, v14, v16
	;; [unrolled: 1-line block ×4, first 2 shown]
	ds_store_b32 v8, v17
	ds_store_2addr_b32 v8, v19, v9 offset0:1 offset1:2
	ds_store_2addr_b32 v8, v13, v15 offset0:3 offset1:4
	;; [unrolled: 1-line block ×5, first 2 shown]
	v_lshlrev_b32_e32 v16, 2, v20
	global_wb scope:SCOPE_SE
	s_wait_dscnt 0x0
	s_barrier_signal -1
	s_barrier_wait -1
	global_inv scope:SCOPE_SE
	s_clause 0x2
	global_load_b128 v[8:11], v16, s[4:5]
	global_load_b128 v[12:15], v16, s[4:5] offset:16
	global_load_b64 v[16:17], v16, s[4:5] offset:32
	ds_load_2addr_b32 v[18:19], v4 offset0:86 offset1:207
	ds_load_2addr_b32 v[20:21], v5 offset0:72 offset1:193
	ds_load_b32 v28, v3 offset:4840
	ds_load_2addr_b32 v[22:23], v3 offset1:121
	ds_load_2addr_b32 v[24:25], v1 offset0:114 offset1:235
	ds_load_2addr_b32 v[26:27], v2 offset0:100 offset1:221
	v_lshlrev_b32_e32 v7, 2, v7
	global_wb scope:SCOPE_SE
	s_wait_loadcnt_dscnt 0x0
	s_barrier_signal -1
	s_barrier_wait -1
	global_inv scope:SCOPE_SE
	s_mul_u64 s[0:1], s[6:7], s[24:25]
	s_wait_alu 0xfffe
	s_lshl_b64 s[0:1], s[0:1], 2
	s_wait_alu 0xfffe
	s_add_nc_u64 s[0:1], s[18:19], s[0:1]
	s_wait_alu 0xfffe
	s_add_nc_u64 s[0:1], s[0:1], s[2:3]
	v_lshrrev_b32_e32 v29, 16, v18
	v_lshrrev_b32_e32 v30, 16, v19
	;; [unrolled: 1-line block ×16, first 2 shown]
	v_mul_f16_e32 v50, v40, v34
	v_mul_f16_e32 v40, v40, v23
	v_lshrrev_b32_e32 v42, 16, v10
	v_lshrrev_b32_e32 v43, 16, v11
	v_mul_f16_e32 v51, v41, v35
	v_mul_f16_e32 v41, v41, v24
	;; [unrolled: 1-line block ×6, first 2 shown]
	v_fmac_f16_e32 v50, v8, v23
	v_fma_f16 v8, v8, v34, -v40
	v_mul_f16_e32 v52, v42, v36
	v_mul_f16_e32 v42, v42, v25
	;; [unrolled: 1-line block ×5, first 2 shown]
	v_fmac_f16_e32 v51, v9, v24
	v_fma_f16 v9, v9, v35, -v41
	v_fmac_f16_e32 v55, v18, v13
	v_fmac_f16_e32 v56, v19, v14
	;; [unrolled: 1-line block ×3, first 2 shown]
	v_fma_f16 v16, v32, v16, -v48
	v_add_f16_e32 v18, v50, v22
	v_add_f16_e32 v19, v8, v39
	v_lshrrev_b32_e32 v44, 16, v12
	v_mul_f16_e32 v43, v43, v26
	v_fmac_f16_e32 v52, v10, v25
	v_fma_f16 v10, v10, v36, -v42
	v_fmac_f16_e32 v53, v11, v26
	v_add_f16_e32 v25, v9, v16
	v_sub_f16_e32 v26, v9, v16
	v_add_f16_e32 v18, v18, v51
	v_add_f16_e32 v9, v19, v9
	v_mul_f16_e32 v54, v44, v38
	v_mul_f16_e32 v44, v44, v27
	v_fma_f16 v11, v11, v37, -v43
	v_add_f16_e32 v18, v18, v52
	v_add_f16_e32 v9, v9, v10
	v_fmac_f16_e32 v54, v12, v27
	v_fma_f16 v12, v12, v38, -v44
	v_lshrrev_b32_e32 v47, 16, v15
	v_add_f16_e32 v18, v18, v53
	v_add_f16_e32 v9, v9, v11
	v_fma_f16 v13, v29, v13, -v45
	v_lshrrev_b32_e32 v49, 16, v17
	v_mul_f16_e32 v57, v31, v47
	v_add_f16_e32 v18, v18, v54
	v_add_f16_e32 v9, v9, v12
	v_mul_f16_e32 v47, v20, v47
	v_fma_f16 v14, v30, v14, -v46
	v_mul_f16_e32 v59, v33, v49
	v_add_f16_e32 v18, v18, v55
	v_add_f16_e32 v9, v9, v13
	v_mul_f16_e32 v49, v28, v49
	v_fmac_f16_e32 v57, v20, v15
	v_fma_f16 v15, v31, v15, -v47
	v_add_f16_e32 v18, v18, v56
	v_add_f16_e32 v9, v9, v14
	v_fmac_f16_e32 v59, v28, v17
	v_fma_f16 v17, v33, v17, -v49
	v_add_f16_e32 v24, v51, v58
	v_add_f16_e32 v18, v18, v57
	;; [unrolled: 1-line block ×5, first 2 shown]
	v_sub_f16_e32 v8, v8, v17
	v_sub_f16_e32 v23, v50, v59
	v_add_f16_e32 v9, v9, v16
	v_add_f16_e32 v16, v18, v58
	v_mul_f16_e32 v31, 0xb08e, v21
	v_mul_f16_e32 v19, 0xb853, v8
	;; [unrolled: 1-line block ×5, first 2 shown]
	v_add_f16_e32 v9, v9, v17
	v_add_f16_e32 v16, v16, v59
	v_mul_f16_e32 v27, 0x3abb, v21
	v_mul_f16_e32 v29, 0x36a6, v21
	;; [unrolled: 1-line block ×6, first 2 shown]
	v_fmamk_f16 v35, v20, 0x3abb, v19
	v_fmamk_f16 v37, v20, 0x36a6, v28
	;; [unrolled: 1-line block ×4, first 2 shown]
	v_fma_f16 v30, v20, 0xb08e, -v30
	v_fmac_f16_e32 v31, 0xbbeb, v23
	v_fmamk_f16 v42, v20, 0xb93d, v32
	v_lshlrev_b32_e32 v9, 16, v9
	v_and_b32_e32 v16, 0xffff, v16
	v_fmamk_f16 v36, v23, 0x3853, v27
	v_fma_f16 v19, v20, 0x3abb, -v19
	v_fmac_f16_e32 v27, 0xb853, v23
	v_fmamk_f16 v38, v23, 0x3b47, v29
	v_fma_f16 v28, v20, 0x36a6, -v28
	v_fmac_f16_e32 v29, 0xbb47, v23
	;; [unrolled: 3-line block ×3, first 2 shown]
	v_fmamk_f16 v44, v20, 0xbbad, v8
	v_fmamk_f16 v45, v23, 0x3482, v21
	v_fma_f16 v8, v20, 0xbbad, -v8
	v_fmac_f16_e32 v21, 0xb482, v23
	v_add_f16_e32 v20, v35, v22
	v_add_f16_e32 v35, v37, v22
	;; [unrolled: 1-line block ×6, first 2 shown]
	v_or_b32_e32 v9, v9, v16
	v_sub_f16_e32 v16, v51, v58
	v_fmamk_f16 v41, v24, 0x36a6, v34
	v_mul_f16_e32 v42, 0x36a6, v25
	v_add_f16_e32 v23, v36, v39
	v_add_f16_e32 v19, v19, v22
	;; [unrolled: 1-line block ×15, first 2 shown]
	v_fmamk_f16 v22, v16, 0x3b47, v42
	v_mul_f16_e32 v39, 0xba0c, v26
	v_fma_f16 v34, v24, 0x36a6, -v34
	v_fmac_f16_e32 v42, 0xbb47, v16
	v_mul_f16_e32 v41, 0xb93d, v25
	v_add_f16_e32 v22, v22, v23
	v_fmamk_f16 v23, v24, 0xb93d, v39
	v_add_f16_e32 v19, v34, v19
	v_add_f16_e32 v27, v42, v27
	v_fmamk_f16 v34, v16, 0x3a0c, v41
	v_mul_f16_e32 v42, 0x3482, v26
	v_add_f16_e32 v23, v23, v35
	v_fma_f16 v35, v24, 0xb93d, -v39
	v_mul_f16_e32 v39, 0xbbad, v25
	v_add_f16_e32 v34, v34, v36
	v_fmamk_f16 v36, v24, 0xbbad, v42
	v_fmac_f16_e32 v41, 0xba0c, v16
	v_add_f16_e32 v28, v35, v28
	v_mul_f16_e32 v35, 0x3beb, v26
	v_mul_f16_e32 v44, 0xb08e, v25
	v_add_f16_e32 v29, v36, v29
	v_fmamk_f16 v36, v16, 0xb482, v39
	v_add_f16_e32 v18, v41, v18
	v_fma_f16 v41, v24, 0xbbad, -v42
	v_fmamk_f16 v42, v24, 0xb08e, v35
	v_mul_f16_e32 v26, 0x3853, v26
	v_add_f16_e32 v36, v36, v37
	v_fmamk_f16 v37, v16, 0xbbeb, v44
	v_fma_f16 v35, v24, 0xb08e, -v35
	v_fmac_f16_e32 v39, 0x3482, v16
	v_mul_f16_e32 v25, 0x3abb, v25
	v_fmac_f16_e32 v44, 0x3beb, v16
	v_add_f16_e32 v37, v37, v38
	v_fmamk_f16 v38, v24, 0x3abb, v26
	v_add_f16_e32 v32, v35, v32
	v_sub_f16_e32 v35, v10, v15
	v_add_f16_e32 v10, v10, v15
	v_add_f16_e32 v30, v39, v30
	v_fmamk_f16 v39, v16, 0xb853, v25
	v_add_f16_e32 v38, v38, v40
	v_add_f16_e32 v40, v52, v57
	v_mul_f16_e32 v15, 0xbbeb, v35
	v_fma_f16 v24, v24, 0x3abb, -v26
	v_fmac_f16_e32 v25, 0x3853, v16
	v_sub_f16_e32 v16, v52, v57
	v_mul_f16_e32 v26, 0xb08e, v10
	v_add_f16_e32 v17, v41, v17
	v_fmamk_f16 v41, v40, 0xb08e, v15
	v_add_f16_e32 v8, v24, v8
	v_add_f16_e32 v21, v25, v21
	v_mul_f16_e32 v24, 0x3482, v35
	v_fmamk_f16 v25, v16, 0x3beb, v26
	v_fma_f16 v15, v40, 0xb08e, -v15
	v_fmac_f16_e32 v26, 0xbbeb, v16
	v_add_f16_e32 v20, v41, v20
	v_fmamk_f16 v41, v40, 0xbbad, v24
	v_add_f16_e32 v22, v25, v22
	v_mul_f16_e32 v25, 0xbbad, v10
	v_add_f16_e32 v15, v15, v19
	v_add_f16_e32 v19, v26, v27
	v_mul_f16_e32 v26, 0x3b47, v35
	v_add_f16_e32 v31, v42, v31
	v_add_f16_e32 v23, v41, v23
	v_fmamk_f16 v27, v16, 0xb482, v25
	v_fma_f16 v24, v40, 0xbbad, -v24
	v_fmac_f16_e32 v25, 0x3482, v16
	v_mul_f16_e32 v41, 0x36a6, v10
	v_fmamk_f16 v42, v40, 0x36a6, v26
	v_add_f16_e32 v27, v27, v34
	v_add_f16_e32 v24, v24, v28
	;; [unrolled: 1-line block ×3, first 2 shown]
	v_fmamk_f16 v25, v16, 0xbb47, v41
	v_add_f16_e32 v28, v42, v29
	v_mul_f16_e32 v29, 0xb853, v35
	v_fma_f16 v26, v40, 0x36a6, -v26
	v_fmac_f16_e32 v41, 0x3b47, v16
	v_mul_f16_e32 v34, 0x3abb, v10
	v_add_f16_e32 v33, v44, v33
	v_add_f16_e32 v25, v25, v36
	v_fmamk_f16 v36, v40, 0x3abb, v29
	v_add_f16_e32 v17, v26, v17
	v_add_f16_e32 v26, v41, v30
	v_mul_f16_e32 v30, 0xba0c, v35
	v_fmamk_f16 v35, v16, 0x3853, v34
	v_fma_f16 v29, v40, 0x3abb, -v29
	v_fmac_f16_e32 v34, 0xb853, v16
	v_add_f16_e32 v31, v36, v31
	v_fmamk_f16 v36, v40, 0xb93d, v30
	v_mul_f16_e32 v10, 0xb93d, v10
	v_add_f16_e32 v29, v29, v32
	v_add_f16_e32 v32, v34, v33
	v_sub_f16_e32 v34, v11, v14
	v_add_f16_e32 v11, v11, v14
	v_add_f16_e32 v39, v39, v43
	v_add_f16_e32 v35, v35, v37
	v_add_f16_e32 v33, v36, v38
	v_fmamk_f16 v36, v16, 0x3a0c, v10
	v_fma_f16 v30, v40, 0xb93d, -v30
	v_add_f16_e32 v14, v53, v56
	v_mul_f16_e32 v37, 0xba0c, v34
	v_fmac_f16_e32 v10, 0xba0c, v16
	v_sub_f16_e32 v16, v53, v56
	v_mul_f16_e32 v38, 0xb93d, v11
	v_add_f16_e32 v36, v36, v39
	v_fmamk_f16 v39, v14, 0xb93d, v37
	v_add_f16_e32 v8, v30, v8
	v_add_f16_e32 v10, v10, v21
	v_fmamk_f16 v21, v16, 0x3a0c, v38
	v_mul_f16_e32 v30, 0x3beb, v34
	v_fma_f16 v37, v14, 0xb93d, -v37
	v_add_f16_e32 v20, v39, v20
	v_fmac_f16_e32 v38, 0xba0c, v16
	v_add_f16_e32 v21, v21, v22
	v_fmamk_f16 v22, v14, 0xb08e, v30
	v_mul_f16_e32 v39, 0xb08e, v11
	v_add_f16_e32 v15, v37, v15
	v_mul_f16_e32 v37, 0xb853, v34
	v_add_f16_e32 v19, v38, v19
	v_add_f16_e32 v22, v22, v23
	v_fmamk_f16 v23, v16, 0xbbeb, v39
	v_fma_f16 v30, v14, 0xb08e, -v30
	v_fmamk_f16 v38, v14, 0x3abb, v37
	v_mul_f16_e32 v40, 0x3abb, v11
	v_fma_f16 v37, v14, 0x3abb, -v37
	v_add_f16_e32 v23, v23, v27
	v_add_f16_e32 v24, v30, v24
	;; [unrolled: 1-line block ×3, first 2 shown]
	v_fmamk_f16 v28, v16, 0x3853, v40
	v_mul_f16_e32 v30, 0xb482, v34
	v_mul_f16_e32 v38, 0xbbad, v11
	v_add_f16_e32 v17, v37, v17
	v_mul_f16_e32 v34, 0x3b47, v34
	v_add_f16_e32 v25, v28, v25
	v_fmamk_f16 v28, v14, 0xbbad, v30
	v_fmamk_f16 v37, v16, 0x3482, v38
	v_fma_f16 v30, v14, 0xbbad, -v30
	v_fmac_f16_e32 v38, 0xb482, v16
	v_mul_f16_e32 v11, 0x36a6, v11
	v_add_f16_e32 v28, v28, v31
	v_add_f16_e32 v31, v37, v35
	v_fmamk_f16 v35, v14, 0x36a6, v34
	v_add_f16_e32 v29, v30, v29
	v_add_f16_e32 v30, v38, v32
	v_sub_f16_e32 v32, v12, v13
	v_add_f16_e32 v12, v12, v13
	v_fmac_f16_e32 v39, 0x3beb, v16
	v_fmac_f16_e32 v40, 0xb853, v16
	v_add_f16_e32 v33, v35, v33
	v_fmamk_f16 v35, v16, 0xbb47, v11
	v_add_f16_e32 v37, v54, v55
	v_mul_f16_e32 v13, 0xb482, v32
	v_fma_f16 v14, v14, 0x36a6, -v34
	v_fmac_f16_e32 v11, 0x3b47, v16
	v_sub_f16_e32 v16, v54, v55
	v_mul_f16_e32 v34, 0xbbad, v12
	v_fmamk_f16 v38, v37, 0xbbad, v13
	v_add_f16_e32 v8, v14, v8
	v_add_f16_e32 v10, v11, v10
	v_fma_f16 v13, v37, 0xbbad, -v13
	v_fmamk_f16 v11, v16, 0x3482, v34
	v_add_f16_e32 v14, v38, v20
	v_mul_f16_e32 v20, 0x3853, v32
	v_fmac_f16_e32 v34, 0xb482, v16
	v_add_f16_e32 v35, v35, v36
	v_add_f16_e32 v11, v11, v21
	v_mul_f16_e32 v21, 0x3abb, v12
	v_fmamk_f16 v36, v37, 0x3abb, v20
	v_add_f16_e32 v13, v13, v15
	v_add_f16_e32 v15, v34, v19
	v_mul_f16_e32 v19, 0xba0c, v32
	v_fmamk_f16 v34, v16, 0xb853, v21
	v_fma_f16 v20, v37, 0x3abb, -v20
	v_add_f16_e32 v18, v39, v18
	v_add_f16_e32 v22, v36, v22
	v_fmac_f16_e32 v21, 0x3853, v16
	v_fmamk_f16 v36, v37, 0xb93d, v19
	v_add_f16_e32 v23, v34, v23
	v_mul_f16_e32 v34, 0xb93d, v12
	v_add_f16_e32 v20, v20, v24
	v_mul_f16_e32 v24, 0x3b47, v32
	v_add_f16_e32 v26, v40, v26
	v_add_f16_e32 v18, v21, v18
	;; [unrolled: 1-line block ×3, first 2 shown]
	v_fmamk_f16 v27, v16, 0x3a0c, v34
	v_fma_f16 v19, v37, 0xb93d, -v19
	v_fmac_f16_e32 v34, 0xba0c, v16
	v_mul_f16_e32 v36, 0x36a6, v12
	v_fmamk_f16 v38, v37, 0x36a6, v24
	v_add_f16_e32 v25, v27, v25
	v_add_f16_e32 v17, v19, v17
	;; [unrolled: 1-line block ×3, first 2 shown]
	v_fmamk_f16 v26, v16, 0xbb47, v36
	v_add_f16_e32 v27, v38, v28
	v_mul_f16_e32 v28, 0xbbeb, v32
	v_mul_f16_e32 v12, 0xb08e, v12
	v_fmac_f16_e32 v36, 0x3b47, v16
	v_add_f16_e32 v26, v26, v31
	v_pack_b32_f16 v11, v14, v11
	v_fmamk_f16 v31, v37, 0xb08e, v28
	v_fmamk_f16 v32, v16, 0x3beb, v12
	v_fma_f16 v28, v37, 0xb08e, -v28
	v_fmac_f16_e32 v12, 0xbbeb, v16
	v_mul_u32_u24_e32 v16, 0x21e, v0
	v_fma_f16 v24, v37, 0x36a6, -v24
	v_pack_b32_f16 v13, v13, v15
	v_add_f16_e32 v8, v28, v8
	v_mul_u32_u24_e32 v28, 0x1e4, v6
	v_lshrrev_b32_e32 v6, 16, v16
	v_add_f16_e32 v24, v24, v29
	v_add_f16_e32 v29, v36, v30
	;; [unrolled: 1-line block ×3, first 2 shown]
	v_add3_u32 v7, 0, v28, v7
	v_mul_lo_u16 v14, 0x79, v6
	v_add_f16_e32 v31, v32, v35
	v_add_f16_e32 v10, v12, v10
	v_pack_b32_f16 v12, v22, v23
	ds_store_2addr_b32 v7, v9, v11 offset1:11
	v_sub_nc_u16 v9, v0, v14
	v_pack_b32_f16 v16, v21, v25
	v_pack_b32_f16 v11, v27, v26
	v_pack_b32_f16 v8, v8, v10
	v_pack_b32_f16 v10, v24, v29
	v_mul_lo_u16 v9, v9, 10
	ds_store_2addr_b32 v7, v12, v16 offset0:22 offset1:33
	v_pack_b32_f16 v12, v30, v31
	v_pack_b32_f16 v14, v17, v19
	;; [unrolled: 1-line block ×3, first 2 shown]
	v_and_b32_e32 v9, 0xffff, v9
	ds_store_2addr_b32 v7, v11, v12 offset0:44 offset1:55
	ds_store_2addr_b32 v7, v8, v10 offset0:66 offset1:77
	;; [unrolled: 1-line block ×3, first 2 shown]
	ds_store_b32 v7, v13 offset:440
	global_wb scope:SCOPE_SE
	s_wait_dscnt 0x0
	s_barrier_signal -1
	v_lshlrev_b32_e32 v15, 2, v9
	s_barrier_wait -1
	global_inv scope:SCOPE_SE
	s_clause 0x2
	global_load_b128 v[7:10], v15, s[4:5] offset:440
	global_load_b128 v[11:14], v15, s[4:5] offset:456
	global_load_b64 v[15:16], v15, s[4:5] offset:472
	ds_load_2addr_b32 v[17:18], v4 offset0:86 offset1:207
	ds_load_2addr_b32 v[4:5], v5 offset0:72 offset1:193
	ds_load_b32 v23, v3 offset:4840
	ds_load_2addr_b32 v[19:20], v3 offset1:121
	ds_load_2addr_b32 v[21:22], v1 offset0:114 offset1:235
	ds_load_2addr_b32 v[1:2], v2 offset0:100 offset1:221
	v_mul_lo_u16 v6, 0x4ba, v6
	s_mul_i32 s4, s14, 0x79
	s_wait_dscnt 0x5
	v_lshrrev_b32_e32 v3, 16, v17
	v_lshrrev_b32_e32 v24, 16, v18
	s_wait_dscnt 0x4
	v_lshrrev_b32_e32 v25, 16, v4
	s_wait_dscnt 0x2
	;; [unrolled: 2-line block ×4, first 2 shown]
	v_lshrrev_b32_e32 v31, 16, v1
	v_lshrrev_b32_e32 v30, 16, v22
	;; [unrolled: 1-line block ×6, first 2 shown]
	s_wait_loadcnt 0x2
	v_lshrrev_b32_e32 v34, 16, v7
	v_lshrrev_b32_e32 v35, 16, v8
	;; [unrolled: 1-line block ×3, first 2 shown]
	s_wait_loadcnt 0x1
	v_lshrrev_b32_e32 v39, 16, v12
	v_lshrrev_b32_e32 v40, 16, v13
	v_mul_f16_e32 v44, v34, v28
	v_mul_f16_e32 v34, v34, v20
	v_lshrrev_b32_e32 v36, 16, v9
	v_mul_f16_e32 v45, v35, v29
	v_mul_f16_e32 v35, v35, v21
	;; [unrolled: 1-line block ×8, first 2 shown]
	v_fmac_f16_e32 v44, v7, v20
	v_fma_f16 v7, v7, v28, -v34
	v_mul_f16_e32 v46, v36, v30
	v_mul_f16_e32 v36, v36, v22
	v_fmac_f16_e32 v45, v8, v21
	v_fma_f16 v8, v8, v29, -v35
	v_fmac_f16_e32 v47, v10, v1
	v_fma_f16 v1, v10, v31, -v37
	;; [unrolled: 2-line block ×4, first 2 shown]
	v_add_f16_e32 v12, v44, v19
	v_add_f16_e32 v13, v7, v33
	v_lshrrev_b32_e32 v38, 16, v11
	v_fmac_f16_e32 v46, v9, v22
	v_fma_f16 v9, v9, v30, -v36
	v_add_f16_e32 v12, v12, v45
	v_add_f16_e32 v13, v13, v8
	v_mul_f16_e32 v48, v38, v32
	v_mul_f16_e32 v38, v38, v2
	v_lshrrev_b32_e32 v41, 16, v14
	v_add_f16_e32 v12, v12, v46
	v_add_f16_e32 v13, v13, v9
	v_fmac_f16_e32 v48, v11, v2
	v_fma_f16 v2, v11, v32, -v38
	s_wait_loadcnt 0x0
	v_lshrrev_b32_e32 v42, 16, v15
	v_add_f16_e32 v12, v12, v47
	v_add_f16_e32 v13, v13, v1
	v_mul_f16_e32 v51, v25, v41
	v_mul_f16_e32 v41, v4, v41
	v_lshrrev_b32_e32 v43, 16, v16
	v_add_f16_e32 v12, v12, v48
	v_add_f16_e32 v13, v13, v2
	v_mul_f16_e32 v52, v26, v42
	v_mul_f16_e32 v42, v5, v42
	v_fmac_f16_e32 v51, v4, v14
	v_add_f16_e32 v12, v12, v49
	v_add_f16_e32 v13, v13, v3
	v_fma_f16 v4, v25, v14, -v41
	v_mul_f16_e32 v53, v27, v43
	v_mul_f16_e32 v43, v23, v43
	v_add_f16_e32 v12, v12, v50
	v_add_f16_e32 v13, v13, v10
	v_fmac_f16_e32 v52, v5, v15
	v_fma_f16 v11, v26, v15, -v42
	v_fmac_f16_e32 v53, v23, v16
	v_add_f16_e32 v12, v12, v51
	v_add_f16_e32 v13, v13, v4
	v_fma_f16 v5, v27, v16, -v43
	v_sub_f16_e32 v18, v8, v11
	v_add_f16_e32 v14, v44, v53
	v_add_f16_e32 v12, v12, v52
	v_add_f16_e32 v13, v13, v11
	v_add_f16_e32 v15, v7, v5
	v_sub_f16_e32 v7, v7, v5
	v_sub_f16_e32 v16, v44, v53
	v_add_f16_e32 v12, v12, v53
	v_add_f16_e32 v5, v13, v5
	v_mul_f16_e32 v21, 0x3abb, v15
	v_mul_f16_e32 v20, 0xb853, v7
	v_mul_f16_e32 v22, 0xbb47, v7
	v_and_b32_e32 v12, 0xffff, v12
	v_lshlrev_b32_e32 v5, 16, v5
	v_mul_f16_e32 v23, 0x36a6, v15
	v_mul_f16_e32 v24, 0xbbeb, v7
	;; [unrolled: 1-line block ×7, first 2 shown]
	v_or_b32_e32 v12, v5, v12
	v_add_f16_e32 v5, v8, v11
	v_add_f16_e32 v17, v45, v52
	v_fmamk_f16 v28, v14, 0x3abb, v20
	v_fmamk_f16 v29, v16, 0x3853, v21
	v_fma_f16 v20, v14, 0x3abb, -v20
	v_fmac_f16_e32 v21, 0xb853, v16
	v_fmamk_f16 v30, v14, 0x36a6, v22
	v_fmamk_f16 v31, v16, 0x3b47, v23
	v_fma_f16 v22, v14, 0x36a6, -v22
	v_fmac_f16_e32 v23, 0xbb47, v16
	;; [unrolled: 4-line block ×4, first 2 shown]
	v_fmamk_f16 v37, v14, 0xbbad, v7
	v_fmamk_f16 v38, v16, 0x3482, v15
	v_mul_f16_e32 v8, 0xbb47, v18
	v_fma_f16 v7, v14, 0xbbad, -v7
	v_fmac_f16_e32 v15, 0xb482, v16
	v_sub_f16_e32 v11, v45, v52
	v_mul_f16_e32 v14, 0x36a6, v5
	v_add_f16_e32 v28, v28, v19
	v_add_f16_e32 v29, v29, v33
	;; [unrolled: 1-line block ×18, first 2 shown]
	v_fmamk_f16 v16, v17, 0x36a6, v8
	v_add_f16_e32 v7, v7, v19
	v_add_f16_e32 v15, v15, v33
	v_mul_f16_e32 v19, 0xba0c, v18
	v_fmamk_f16 v33, v11, 0x3b47, v14
	v_fmac_f16_e32 v14, 0xbb47, v11
	v_add_f16_e32 v16, v16, v28
	v_fma_f16 v8, v17, 0x36a6, -v8
	v_fmamk_f16 v28, v17, 0xb93d, v19
	v_add_f16_e32 v29, v33, v29
	v_mul_f16_e32 v33, 0xb93d, v5
	v_add_f16_e32 v14, v14, v21
	v_mul_f16_e32 v21, 0x3482, v18
	v_add_f16_e32 v8, v8, v20
	v_add_f16_e32 v20, v28, v30
	v_fmamk_f16 v28, v11, 0x3a0c, v33
	v_fma_f16 v19, v17, 0xb93d, -v19
	v_fmac_f16_e32 v33, 0xba0c, v11
	v_mul_f16_e32 v30, 0xbbad, v5
	v_fmamk_f16 v38, v17, 0xbbad, v21
	v_add_f16_e32 v28, v28, v31
	v_add_f16_e32 v19, v19, v22
	;; [unrolled: 1-line block ×3, first 2 shown]
	v_fmamk_f16 v23, v11, 0xb482, v30
	v_add_f16_e32 v31, v38, v32
	v_mul_f16_e32 v32, 0x3beb, v18
	v_fmac_f16_e32 v30, 0x3482, v11
	v_mul_f16_e32 v18, 0x3853, v18
	v_fma_f16 v21, v17, 0xbbad, -v21
	v_add_f16_e32 v23, v23, v34
	v_mul_f16_e32 v33, 0xb08e, v5
	v_fmamk_f16 v34, v17, 0xb08e, v32
	v_add_f16_e32 v13, v30, v13
	v_fma_f16 v30, v17, 0xb08e, -v32
	v_fmamk_f16 v32, v17, 0x3abb, v18
	v_add_f16_e32 v21, v21, v24
	v_fmamk_f16 v24, v11, 0xbbeb, v33
	v_fmac_f16_e32 v33, 0x3beb, v11
	v_mul_f16_e32 v5, 0x3abb, v5
	v_add_f16_e32 v26, v30, v26
	v_add_f16_e32 v30, v32, v36
	v_sub_f16_e32 v32, v9, v4
	v_add_f16_e32 v4, v9, v4
	v_add_f16_e32 v25, v34, v25
	;; [unrolled: 1-line block ×3, first 2 shown]
	v_fmamk_f16 v33, v11, 0xb853, v5
	v_fma_f16 v17, v17, 0x3abb, -v18
	v_add_f16_e32 v9, v46, v51
	v_mul_f16_e32 v18, 0xbbeb, v32
	v_fmac_f16_e32 v5, 0x3853, v11
	v_sub_f16_e32 v11, v46, v51
	v_mul_f16_e32 v34, 0xb08e, v4
	v_add_f16_e32 v24, v24, v35
	v_fmamk_f16 v35, v9, 0xb08e, v18
	v_add_f16_e32 v7, v17, v7
	v_add_f16_e32 v5, v5, v15
	v_fmamk_f16 v15, v11, 0x3beb, v34
	v_mul_f16_e32 v17, 0x3482, v32
	v_fma_f16 v18, v9, 0xb08e, -v18
	v_add_f16_e32 v16, v35, v16
	v_fmac_f16_e32 v34, 0xbbeb, v11
	v_add_f16_e32 v15, v15, v29
	v_fmamk_f16 v29, v9, 0xbbad, v17
	v_mul_f16_e32 v35, 0xbbad, v4
	v_add_f16_e32 v8, v18, v8
	v_mul_f16_e32 v18, 0x3b47, v32
	v_add_f16_e32 v14, v34, v14
	v_add_f16_e32 v20, v29, v20
	v_fmamk_f16 v29, v11, 0xb482, v35
	v_fma_f16 v17, v9, 0xbbad, -v17
	v_fmac_f16_e32 v35, 0x3482, v11
	v_fmamk_f16 v34, v9, 0x36a6, v18
	v_mul_f16_e32 v36, 0x36a6, v4
	v_add_f16_e32 v28, v29, v28
	v_add_f16_e32 v17, v17, v19
	v_add_f16_e32 v19, v35, v22
	v_add_f16_e32 v22, v34, v31
	v_fmamk_f16 v29, v11, 0xbb47, v36
	v_mul_f16_e32 v31, 0xb853, v32
	v_fma_f16 v18, v9, 0x36a6, -v18
	v_mul_f16_e32 v34, 0x3abb, v4
	v_mul_f16_e32 v32, 0xba0c, v32
	v_add_f16_e32 v23, v29, v23
	v_fmamk_f16 v29, v9, 0x3abb, v31
	v_add_f16_e32 v18, v18, v21
	v_fmamk_f16 v21, v11, 0x3853, v34
	v_fmac_f16_e32 v34, 0xb853, v11
	v_mul_f16_e32 v4, 0xb93d, v4
	v_add_f16_e32 v25, v29, v25
	v_fma_f16 v29, v9, 0x3abb, -v31
	v_add_f16_e32 v21, v21, v24
	v_fmamk_f16 v24, v9, 0xb93d, v32
	v_add_f16_e32 v27, v34, v27
	v_add_f16_e32 v31, v47, v50
	;; [unrolled: 1-line block ×3, first 2 shown]
	v_sub_f16_e32 v29, v1, v10
	v_add_f16_e32 v1, v1, v10
	v_add_f16_e32 v33, v33, v37
	v_fmac_f16_e32 v36, 0x3b47, v11
	v_add_f16_e32 v24, v24, v30
	v_mul_f16_e32 v34, 0xba0c, v29
	v_fmamk_f16 v30, v11, 0x3a0c, v4
	v_fma_f16 v9, v9, 0xb93d, -v32
	v_fmac_f16_e32 v4, 0xba0c, v11
	v_sub_f16_e32 v10, v47, v50
	v_fmamk_f16 v11, v31, 0xb93d, v34
	v_mul_f16_e32 v32, 0xb93d, v1
	v_add_f16_e32 v30, v30, v33
	v_add_f16_e32 v7, v9, v7
	;; [unrolled: 1-line block ×4, first 2 shown]
	v_fmamk_f16 v9, v10, 0x3a0c, v32
	v_mul_f16_e32 v11, 0x3beb, v29
	v_fma_f16 v16, v31, 0xb93d, -v34
	v_fmac_f16_e32 v32, 0xba0c, v10
	v_mul_f16_e32 v33, 0xb08e, v1
	v_add_f16_e32 v9, v9, v15
	v_fmamk_f16 v15, v31, 0xb08e, v11
	v_add_f16_e32 v8, v16, v8
	v_add_f16_e32 v14, v32, v14
	v_fmamk_f16 v16, v10, 0xbbeb, v33
	v_mul_f16_e32 v32, 0xb853, v29
	v_fma_f16 v11, v31, 0xb08e, -v11
	v_fmac_f16_e32 v33, 0x3beb, v10
	v_add_f16_e32 v15, v15, v20
	v_add_f16_e32 v16, v16, v28
	v_fmamk_f16 v20, v31, 0x3abb, v32
	v_mul_f16_e32 v28, 0x3abb, v1
	v_add_f16_e32 v11, v11, v17
	v_add_f16_e32 v17, v33, v19
	v_mul_f16_e32 v19, 0xb482, v29
	v_add_f16_e32 v13, v36, v13
	v_add_f16_e32 v20, v20, v22
	v_fmamk_f16 v22, v10, 0x3853, v28
	v_fmac_f16_e32 v28, 0xb853, v10
	v_fmamk_f16 v33, v31, 0xbbad, v19
	v_mul_f16_e32 v34, 0xbbad, v1
	v_mul_f16_e32 v1, 0x36a6, v1
	v_add_f16_e32 v22, v22, v23
	v_add_f16_e32 v13, v28, v13
	;; [unrolled: 1-line block ×3, first 2 shown]
	v_fmamk_f16 v25, v10, 0x3482, v34
	v_mul_f16_e32 v28, 0x3b47, v29
	v_fma_f16 v19, v31, 0xbbad, -v19
	v_fmac_f16_e32 v34, 0xb482, v10
	v_fmamk_f16 v29, v10, 0xbb47, v1
	v_add_f16_e32 v21, v25, v21
	v_fmamk_f16 v25, v31, 0x36a6, v28
	v_add_f16_e32 v19, v19, v26
	v_add_f16_e32 v26, v34, v27
	v_sub_f16_e32 v27, v2, v3
	v_add_f16_e32 v2, v2, v3
	v_fma_f16 v32, v31, 0x3abb, -v32
	v_add_f16_e32 v24, v25, v24
	v_add_f16_e32 v25, v29, v30
	v_add_f16_e32 v29, v48, v49
	v_mul_f16_e32 v3, 0xb482, v27
	v_fmac_f16_e32 v1, 0x3b47, v10
	v_sub_f16_e32 v10, v48, v49
	v_mul_f16_e32 v30, 0xbbad, v2
	v_add_f16_e32 v18, v32, v18
	v_fma_f16 v28, v31, 0x36a6, -v28
	v_fmamk_f16 v31, v29, 0xbbad, v3
	v_add_f16_e32 v32, v1, v4
	v_mul_f16_e32 v1, 0x3853, v27
	v_fmamk_f16 v4, v10, 0x3482, v30
	v_fma_f16 v3, v29, 0xbbad, -v3
	v_add_f16_e32 v28, v28, v7
	v_add_f16_e32 v7, v31, v5
	v_fmamk_f16 v5, v29, 0x3abb, v1
	v_add_f16_e32 v9, v4, v9
	v_mul_f16_e32 v4, 0x3abb, v2
	v_fmac_f16_e32 v30, 0xb482, v10
	v_add_f16_e32 v31, v3, v8
	v_mul_f16_e32 v3, 0xba0c, v27
	v_add_f16_e32 v8, v5, v15
	v_fmamk_f16 v5, v10, 0xb853, v4
	v_mul_f16_e32 v15, 0xb93d, v2
	v_fma_f16 v1, v29, 0x3abb, -v1
	v_fmac_f16_e32 v4, 0x3853, v10
	v_add_f16_e32 v14, v30, v14
	v_fmamk_f16 v30, v29, 0xb93d, v3
	v_fma_f16 v3, v29, 0xb93d, -v3
	v_add_f16_e32 v16, v5, v16
	v_fmamk_f16 v5, v10, 0x3a0c, v15
	v_add_f16_e32 v33, v1, v11
	v_add_f16_e32 v17, v4, v17
	v_mul_f16_e32 v1, 0x3b47, v27
	v_mul_f16_e32 v4, 0x36a6, v2
	v_add_f16_e32 v18, v3, v18
	v_and_b32_e32 v3, 0xffff, v6
	v_add_f16_e32 v11, v30, v20
	v_add_f16_e32 v20, v5, v22
	v_fmac_f16_e32 v15, 0xba0c, v10
	v_fmamk_f16 v5, v29, 0x36a6, v1
	v_fmamk_f16 v22, v10, 0xbb47, v4
	v_add_nc_u32_e32 v0, v0, v3
	v_fma_f16 v1, v29, 0x36a6, -v1
	v_add_f16_e32 v13, v15, v13
	v_add_f16_e32 v15, v5, v23
	;; [unrolled: 1-line block ×3, first 2 shown]
	v_mul_f16_e32 v5, 0xbbeb, v27
	v_mul_f16_e32 v22, 0xb08e, v2
	v_mul_lo_u32 v0, v0, s14
	v_add_f16_e32 v19, v1, v19
	v_mov_b32_e32 v1, 0
	v_fmamk_f16 v2, v29, 0xb08e, v5
	v_fmamk_f16 v3, v10, 0x3beb, v22
	v_fmac_f16_e32 v4, 0x3b47, v10
	v_pack_b32_f16 v9, v7, v9
	v_fmac_f16_e32 v22, 0xbbeb, v10
	v_add_f16_e32 v24, v2, v24
	v_add_f16_e32 v25, v3, v25
	v_lshlrev_b64_e32 v[2:3], 2, v[0:1]
	v_add_nc_u32_e32 v0, s4, v0
	v_add_f16_e32 v23, v4, v26
	v_fma_f16 v26, v29, 0xb08e, -v5
	v_pack_b32_f16 v15, v15, v21
	v_add_f16_e32 v22, v22, v32
	v_lshlrev_b64_e32 v[4:5], 2, v[0:1]
	v_add_nc_u32_e32 v0, s4, v0
	s_wait_alu 0xfffe
	v_add_co_u32 v2, vcc_lo, s0, v2
	s_wait_alu 0xfffd
	v_add_co_ci_u32_e32 v3, vcc_lo, s1, v3, vcc_lo
	v_add_co_u32 v4, vcc_lo, s0, v4
	v_lshlrev_b64_e32 v[6:7], 2, v[0:1]
	v_add_nc_u32_e32 v0, s4, v0
	s_wait_alu 0xfffd
	v_add_co_ci_u32_e32 v5, vcc_lo, s1, v5, vcc_lo
	s_clause 0x1
	global_store_b32 v[2:3], v12, off
	global_store_b32 v[4:5], v9, off
	v_lshlrev_b64_e32 v[2:3], 2, v[0:1]
	v_add_nc_u32_e32 v0, s4, v0
	v_add_co_u32 v4, vcc_lo, s0, v6
	s_wait_alu 0xfffd
	v_add_co_ci_u32_e32 v5, vcc_lo, s1, v7, vcc_lo
	s_delay_alu instid0(VALU_DEP_3)
	v_lshlrev_b64_e32 v[6:7], 2, v[0:1]
	v_add_nc_u32_e32 v0, s4, v0
	v_pack_b32_f16 v12, v8, v16
	v_add_co_u32 v2, vcc_lo, s0, v2
	s_wait_alu 0xfffd
	v_add_co_ci_u32_e32 v3, vcc_lo, s1, v3, vcc_lo
	v_lshlrev_b64_e32 v[8:9], 2, v[0:1]
	v_add_nc_u32_e32 v0, s4, v0
	v_add_co_u32 v6, vcc_lo, s0, v6
	v_pack_b32_f16 v16, v11, v20
	s_wait_alu 0xfffd
	v_add_co_ci_u32_e32 v7, vcc_lo, s1, v7, vcc_lo
	v_lshlrev_b64_e32 v[10:11], 2, v[0:1]
	v_add_nc_u32_e32 v0, s4, v0
	v_add_co_u32 v8, vcc_lo, s0, v8
	s_wait_alu 0xfffd
	v_add_co_ci_u32_e32 v9, vcc_lo, s1, v9, vcc_lo
	v_pack_b32_f16 v20, v24, v25
	s_clause 0x3
	global_store_b32 v[4:5], v12, off
	global_store_b32 v[2:3], v16, off
	;; [unrolled: 1-line block ×4, first 2 shown]
	v_lshlrev_b64_e32 v[2:3], 2, v[0:1]
	v_add_nc_u32_e32 v0, s4, v0
	v_add_co_u32 v4, vcc_lo, s0, v10
	s_wait_alu 0xfffd
	v_add_co_ci_u32_e32 v5, vcc_lo, s1, v11, vcc_lo
	s_delay_alu instid0(VALU_DEP_3)
	v_lshlrev_b64_e32 v[6:7], 2, v[0:1]
	v_add_nc_u32_e32 v0, s4, v0
	v_add_co_u32 v2, vcc_lo, s0, v2
	v_add_f16_e32 v26, v26, v28
	s_wait_alu 0xfffd
	v_add_co_ci_u32_e32 v3, vcc_lo, s1, v3, vcc_lo
	v_lshlrev_b64_e32 v[8:9], 2, v[0:1]
	v_add_nc_u32_e32 v0, s4, v0
	v_add_co_u32 v6, vcc_lo, s0, v6
	s_wait_alu 0xfffd
	v_add_co_ci_u32_e32 v7, vcc_lo, s1, v7, vcc_lo
	s_delay_alu instid0(VALU_DEP_3)
	v_lshlrev_b64_e32 v[0:1], 2, v[0:1]
	v_add_co_u32 v8, vcc_lo, s0, v8
	v_pack_b32_f16 v10, v26, v22
	v_pack_b32_f16 v11, v19, v23
	s_wait_alu 0xfffd
	v_add_co_ci_u32_e32 v9, vcc_lo, s1, v9, vcc_lo
	v_pack_b32_f16 v12, v18, v13
	v_add_co_u32 v0, vcc_lo, s0, v0
	v_pack_b32_f16 v13, v33, v17
	s_wait_alu 0xfffd
	v_add_co_ci_u32_e32 v1, vcc_lo, s1, v1, vcc_lo
	v_pack_b32_f16 v14, v31, v14
	s_clause 0x4
	global_store_b32 v[4:5], v10, off
	global_store_b32 v[2:3], v11, off
	global_store_b32 v[6:7], v12, off
	global_store_b32 v[8:9], v13, off
	global_store_b32 v[0:1], v14, off
	s_nop 0
	s_sendmsg sendmsg(MSG_DEALLOC_VGPRS)
	s_endpgm
	.section	.rodata,"a",@progbits
	.p2align	6, 0x0
	.amdhsa_kernel fft_rtc_back_len1331_factors_11_11_11_wgs_121_tpt_121_half_op_CI_CI_sbrc_unaligned_dirReg
		.amdhsa_group_segment_fixed_size 0
		.amdhsa_private_segment_fixed_size 0
		.amdhsa_kernarg_size 104
		.amdhsa_user_sgpr_count 2
		.amdhsa_user_sgpr_dispatch_ptr 0
		.amdhsa_user_sgpr_queue_ptr 0
		.amdhsa_user_sgpr_kernarg_segment_ptr 1
		.amdhsa_user_sgpr_dispatch_id 0
		.amdhsa_user_sgpr_private_segment_size 0
		.amdhsa_wavefront_size32 1
		.amdhsa_uses_dynamic_stack 0
		.amdhsa_enable_private_segment 0
		.amdhsa_system_sgpr_workgroup_id_x 1
		.amdhsa_system_sgpr_workgroup_id_y 0
		.amdhsa_system_sgpr_workgroup_id_z 0
		.amdhsa_system_sgpr_workgroup_info 0
		.amdhsa_system_vgpr_workitem_id 0
		.amdhsa_next_free_vgpr 60
		.amdhsa_next_free_sgpr 48
		.amdhsa_reserve_vcc 1
		.amdhsa_float_round_mode_32 0
		.amdhsa_float_round_mode_16_64 0
		.amdhsa_float_denorm_mode_32 3
		.amdhsa_float_denorm_mode_16_64 3
		.amdhsa_fp16_overflow 0
		.amdhsa_workgroup_processor_mode 1
		.amdhsa_memory_ordered 1
		.amdhsa_forward_progress 0
		.amdhsa_round_robin_scheduling 0
		.amdhsa_exception_fp_ieee_invalid_op 0
		.amdhsa_exception_fp_denorm_src 0
		.amdhsa_exception_fp_ieee_div_zero 0
		.amdhsa_exception_fp_ieee_overflow 0
		.amdhsa_exception_fp_ieee_underflow 0
		.amdhsa_exception_fp_ieee_inexact 0
		.amdhsa_exception_int_div_zero 0
	.end_amdhsa_kernel
	.text
.Lfunc_end0:
	.size	fft_rtc_back_len1331_factors_11_11_11_wgs_121_tpt_121_half_op_CI_CI_sbrc_unaligned_dirReg, .Lfunc_end0-fft_rtc_back_len1331_factors_11_11_11_wgs_121_tpt_121_half_op_CI_CI_sbrc_unaligned_dirReg
                                        ; -- End function
	.section	.AMDGPU.csdata,"",@progbits
; Kernel info:
; codeLenInByte = 10880
; NumSgprs: 50
; NumVgprs: 60
; ScratchSize: 0
; MemoryBound: 0
; FloatMode: 240
; IeeeMode: 1
; LDSByteSize: 0 bytes/workgroup (compile time only)
; SGPRBlocks: 6
; VGPRBlocks: 7
; NumSGPRsForWavesPerEU: 50
; NumVGPRsForWavesPerEU: 60
; Occupancy: 16
; WaveLimiterHint : 1
; COMPUTE_PGM_RSRC2:SCRATCH_EN: 0
; COMPUTE_PGM_RSRC2:USER_SGPR: 2
; COMPUTE_PGM_RSRC2:TRAP_HANDLER: 0
; COMPUTE_PGM_RSRC2:TGID_X_EN: 1
; COMPUTE_PGM_RSRC2:TGID_Y_EN: 0
; COMPUTE_PGM_RSRC2:TGID_Z_EN: 0
; COMPUTE_PGM_RSRC2:TIDIG_COMP_CNT: 0
	.text
	.p2alignl 7, 3214868480
	.fill 96, 4, 3214868480
	.type	__hip_cuid_d3d5f17a71c7157,@object ; @__hip_cuid_d3d5f17a71c7157
	.section	.bss,"aw",@nobits
	.globl	__hip_cuid_d3d5f17a71c7157
__hip_cuid_d3d5f17a71c7157:
	.byte	0                               ; 0x0
	.size	__hip_cuid_d3d5f17a71c7157, 1

	.ident	"AMD clang version 19.0.0git (https://github.com/RadeonOpenCompute/llvm-project roc-6.4.0 25133 c7fe45cf4b819c5991fe208aaa96edf142730f1d)"
	.section	".note.GNU-stack","",@progbits
	.addrsig
	.addrsig_sym __hip_cuid_d3d5f17a71c7157
	.amdgpu_metadata
---
amdhsa.kernels:
  - .args:
      - .actual_access:  read_only
        .address_space:  global
        .offset:         0
        .size:           8
        .value_kind:     global_buffer
      - .offset:         8
        .size:           8
        .value_kind:     by_value
      - .actual_access:  read_only
        .address_space:  global
        .offset:         16
        .size:           8
        .value_kind:     global_buffer
      - .actual_access:  read_only
        .address_space:  global
        .offset:         24
        .size:           8
        .value_kind:     global_buffer
      - .actual_access:  read_only
        .address_space:  global
        .offset:         32
        .size:           8
        .value_kind:     global_buffer
      - .offset:         40
        .size:           8
        .value_kind:     by_value
      - .actual_access:  read_only
        .address_space:  global
        .offset:         48
        .size:           8
        .value_kind:     global_buffer
      - .actual_access:  read_only
        .address_space:  global
        .offset:         56
        .size:           8
        .value_kind:     global_buffer
      - .offset:         64
        .size:           4
        .value_kind:     by_value
      - .actual_access:  read_only
        .address_space:  global
        .offset:         72
        .size:           8
        .value_kind:     global_buffer
      - .actual_access:  read_only
        .address_space:  global
        .offset:         80
        .size:           8
        .value_kind:     global_buffer
      - .actual_access:  read_only
        .address_space:  global
        .offset:         88
        .size:           8
        .value_kind:     global_buffer
      - .actual_access:  write_only
        .address_space:  global
        .offset:         96
        .size:           8
        .value_kind:     global_buffer
    .group_segment_fixed_size: 0
    .kernarg_segment_align: 8
    .kernarg_segment_size: 104
    .language:       OpenCL C
    .language_version:
      - 2
      - 0
    .max_flat_workgroup_size: 121
    .name:           fft_rtc_back_len1331_factors_11_11_11_wgs_121_tpt_121_half_op_CI_CI_sbrc_unaligned_dirReg
    .private_segment_fixed_size: 0
    .sgpr_count:     50
    .sgpr_spill_count: 0
    .symbol:         fft_rtc_back_len1331_factors_11_11_11_wgs_121_tpt_121_half_op_CI_CI_sbrc_unaligned_dirReg.kd
    .uniform_work_group_size: 1
    .uses_dynamic_stack: false
    .vgpr_count:     60
    .vgpr_spill_count: 0
    .wavefront_size: 32
    .workgroup_processor_mode: 1
amdhsa.target:   amdgcn-amd-amdhsa--gfx1201
amdhsa.version:
  - 1
  - 2
...

	.end_amdgpu_metadata
